;; amdgpu-corpus repo=ROCm/rocFFT kind=compiled arch=gfx1030 opt=O3
	.text
	.amdgcn_target "amdgcn-amd-amdhsa--gfx1030"
	.amdhsa_code_object_version 6
	.protected	bluestein_single_fwd_len1911_dim1_half_op_CI_CI ; -- Begin function bluestein_single_fwd_len1911_dim1_half_op_CI_CI
	.globl	bluestein_single_fwd_len1911_dim1_half_op_CI_CI
	.p2align	8
	.type	bluestein_single_fwd_len1911_dim1_half_op_CI_CI,@function
bluestein_single_fwd_len1911_dim1_half_op_CI_CI: ; @bluestein_single_fwd_len1911_dim1_half_op_CI_CI
; %bb.0:
	s_load_dwordx4 s[12:15], s[4:5], 0x28
	v_mul_u32_u24_e32 v1, 0x2d1, v0
	v_mov_b32_e32 v29, 0
	s_mov_b32 s0, exec_lo
	v_lshrrev_b32_e32 v1, 16, v1
	v_add_nc_u32_e32 v28, s6, v1
	s_waitcnt lgkmcnt(0)
	v_cmpx_gt_u64_e64 s[12:13], v[28:29]
	s_cbranch_execz .LBB0_15
; %bb.1:
	s_clause 0x1
	s_load_dwordx4 s[8:11], s[4:5], 0x18
	s_load_dwordx2 s[6:7], s[4:5], 0x0
	v_mul_lo_u16 v1, 0x5b, v1
	v_sub_nc_u16 v7, v0, v1
	v_and_b32_e32 v91, 0xffff, v7
	v_lshlrev_b32_e32 v79, 2, v91
	s_waitcnt lgkmcnt(0)
	s_load_dwordx4 s[0:3], s[8:9], 0x0
	s_clause 0x3
	global_load_dword v93, v79, s[6:7]
	global_load_dword v92, v79, s[6:7] offset:588
	global_load_dword v90, v79, s[6:7] offset:1176
	;; [unrolled: 1-line block ×3, first 2 shown]
	s_waitcnt lgkmcnt(0)
	v_mad_u64_u32 v[0:1], null, s2, v28, 0
	v_mad_u64_u32 v[2:3], null, s0, v91, 0
	v_add_co_u32 v26, s2, s6, v79
	v_add_co_ci_u32_e64 v27, null, s7, 0, s2
	s_mul_hi_u32 s6, s0, 0x93
	v_add_co_u32 v24, vcc_lo, 0x800, v26
	v_mad_u64_u32 v[4:5], null, s3, v28, v[1:2]
	v_add_co_ci_u32_e32 v25, vcc_lo, 0, v27, vcc_lo
	s_mul_i32 s3, s1, 0x93
	s_mul_i32 s2, s0, 0x93
	s_add_i32 s3, s6, s3
	global_load_dword v88, v[24:25], off offset:304
	v_mad_u64_u32 v[5:6], null, s1, v91, v[3:4]
	v_mov_b32_e32 v1, v4
	s_lshl_b64 s[2:3], s[2:3], 2
	s_load_dwordx2 s[6:7], s[4:5], 0x38
	v_lshlrev_b64 v[0:1], 2, v[0:1]
	v_mov_b32_e32 v3, v5
	v_add_co_u32 v0, vcc_lo, s14, v0
	v_lshlrev_b64 v[2:3], 2, v[2:3]
	v_add_co_ci_u32_e32 v1, vcc_lo, s15, v1, vcc_lo
	v_add_co_u32 v0, vcc_lo, v0, v2
	v_add_co_ci_u32_e32 v1, vcc_lo, v1, v3, vcc_lo
	v_add_co_u32 v2, vcc_lo, v0, s2
	v_add_co_ci_u32_e32 v3, vcc_lo, s3, v1, vcc_lo
	s_clause 0x1
	global_load_dword v6, v[0:1], off
	global_load_dword v8, v[2:3], off
	v_add_co_u32 v0, vcc_lo, v2, s2
	v_add_co_ci_u32_e32 v1, vcc_lo, s3, v3, vcc_lo
	v_add_co_u32 v2, vcc_lo, v0, s2
	v_add_co_ci_u32_e32 v3, vcc_lo, s3, v1, vcc_lo
	global_load_dword v9, v[0:1], off
	v_add_co_u32 v0, vcc_lo, v2, s2
	v_add_co_ci_u32_e32 v1, vcc_lo, s3, v3, vcc_lo
	s_clause 0x1
	global_load_dword v10, v[2:3], off
	global_load_dword v11, v[0:1], off
	v_add_co_u32 v4, vcc_lo, v0, s2
	v_add_co_ci_u32_e32 v5, vcc_lo, s3, v1, vcc_lo
	v_add_co_u32 v0, vcc_lo, v4, s2
	v_add_co_ci_u32_e32 v1, vcc_lo, s3, v5, vcc_lo
	v_add_co_u32 v22, vcc_lo, 0x1000, v26
	v_add_co_ci_u32_e32 v23, vcc_lo, 0, v27, vcc_lo
	global_load_dword v87, v[24:25], off offset:892
	global_load_dword v12, v[4:5], off
	global_load_dword v13, v[0:1], off
	v_add_co_u32 v0, vcc_lo, v0, s2
	v_add_co_ci_u32_e32 v1, vcc_lo, s3, v1, vcc_lo
	s_clause 0x4
	global_load_dword v86, v[24:25], off offset:1480
	global_load_dword v85, v[22:23], off offset:20
	;; [unrolled: 1-line block ×5, first 2 shown]
	v_add_co_u32 v2, vcc_lo, v0, s2
	v_add_co_ci_u32_e32 v3, vcc_lo, s3, v1, vcc_lo
	global_load_dword v14, v[0:1], off
	v_add_co_u32 v0, vcc_lo, v2, s2
	v_add_co_ci_u32_e32 v1, vcc_lo, s3, v3, vcc_lo
	global_load_dword v15, v[2:3], off
	;; [unrolled: 3-line block ×4, first 2 shown]
	v_add_co_u32 v0, vcc_lo, v4, s2
	v_add_co_ci_u32_e32 v1, vcc_lo, s3, v5, vcc_lo
	v_add_co_u32 v20, vcc_lo, 0x1800, v26
	v_add_co_ci_u32_e32 v21, vcc_lo, 0, v27, vcc_lo
	global_load_dword v5, v[4:5], off
	global_load_dword v18, v[0:1], off
	s_clause 0x1
	global_load_dword v81, v[20:21], off offset:324
	global_load_dword v80, v[20:21], off offset:912
	v_add_nc_u32_e32 v2, 0x400, v79
	v_add_nc_u32_e32 v3, 0x800, v79
	s_load_dwordx4 s[8:11], s[10:11], 0x0
	v_add_nc_u32_e32 v4, 0xd00, v79
	v_cmp_gt_u16_e32 vcc_lo, 56, v7
	s_waitcnt vmcnt(20)
	v_lshrrev_b32_e32 v19, 16, v6
	v_mul_f16_sdwa v29, v93, v6 dst_sel:DWORD dst_unused:UNUSED_PAD src0_sel:WORD_1 src1_sel:DWORD
	s_waitcnt vmcnt(19)
	v_lshrrev_b32_e32 v31, 16, v8
	v_mul_f16_sdwa v32, v92, v8 dst_sel:DWORD dst_unused:UNUSED_PAD src0_sel:WORD_1 src1_sel:DWORD
	v_mul_f16_sdwa v30, v93, v19 dst_sel:DWORD dst_unused:UNUSED_PAD src0_sel:WORD_1 src1_sel:DWORD
	v_fma_f16 v19, v93, v19, -v29
	v_fmac_f16_e32 v30, v93, v6
	v_mul_f16_sdwa v6, v92, v31 dst_sel:DWORD dst_unused:UNUSED_PAD src0_sel:WORD_1 src1_sel:DWORD
	v_fma_f16 v31, v92, v31, -v32
	s_waitcnt vmcnt(18)
	v_lshrrev_b32_e32 v29, 16, v9
	v_mul_f16_sdwa v32, v90, v9 dst_sel:DWORD dst_unused:UNUSED_PAD src0_sel:WORD_1 src1_sel:DWORD
	v_pack_b32_f16 v19, v30, v19
	v_fmac_f16_e32 v6, v92, v8
	v_mul_f16_sdwa v8, v90, v29 dst_sel:DWORD dst_unused:UNUSED_PAD src0_sel:WORD_1 src1_sel:DWORD
	s_waitcnt vmcnt(17)
	v_lshrrev_b32_e32 v30, 16, v10
	v_mul_f16_sdwa v33, v89, v10 dst_sel:DWORD dst_unused:UNUSED_PAD src0_sel:WORD_1 src1_sel:DWORD
	v_fma_f16 v29, v90, v29, -v32
	v_pack_b32_f16 v6, v6, v31
	v_fmac_f16_e32 v8, v90, v9
	v_mul_f16_sdwa v9, v89, v30 dst_sel:DWORD dst_unused:UNUSED_PAD src0_sel:WORD_1 src1_sel:DWORD
	s_waitcnt vmcnt(16)
	v_lshrrev_b32_e32 v31, 16, v11
	v_fma_f16 v30, v89, v30, -v33
	ds_write2_b32 v79, v19, v6 offset1:147
	v_pack_b32_f16 v6, v8, v29
	v_fmac_f16_e32 v9, v89, v10
	v_mul_f16_sdwa v8, v88, v31 dst_sel:DWORD dst_unused:UNUSED_PAD src0_sel:WORD_1 src1_sel:DWORD
	v_mul_f16_sdwa v32, v88, v11 dst_sel:DWORD dst_unused:UNUSED_PAD src0_sel:WORD_1 src1_sel:DWORD
	s_waitcnt vmcnt(14)
	v_lshrrev_b32_e32 v10, 16, v12
	v_mul_f16_sdwa v19, v87, v12 dst_sel:DWORD dst_unused:UNUSED_PAD src0_sel:WORD_1 src1_sel:DWORD
	v_pack_b32_f16 v9, v9, v30
	v_fmac_f16_e32 v8, v88, v11
	v_fma_f16 v29, v88, v31, -v32
	v_mul_f16_sdwa v11, v87, v10 dst_sel:DWORD dst_unused:UNUSED_PAD src0_sel:WORD_1 src1_sel:DWORD
	v_fma_f16 v10, v87, v10, -v19
	s_waitcnt vmcnt(13)
	v_lshrrev_b32_e32 v19, 16, v13
	ds_write2_b32 v2, v6, v9 offset0:38 offset1:185
	v_pack_b32_f16 v6, v8, v29
	v_fmac_f16_e32 v11, v87, v12
	s_waitcnt vmcnt(7)
	v_lshrrev_b32_e32 v9, 16, v14
	v_mul_f16_sdwa v12, v85, v14 dst_sel:DWORD dst_unused:UNUSED_PAD src0_sel:WORD_1 src1_sel:DWORD
	v_mul_f16_sdwa v8, v86, v19 dst_sel:DWORD dst_unused:UNUSED_PAD src0_sel:WORD_1 src1_sel:DWORD
	;; [unrolled: 1-line block ×3, first 2 shown]
	v_pack_b32_f16 v10, v11, v10
	v_mul_f16_sdwa v11, v85, v9 dst_sel:DWORD dst_unused:UNUSED_PAD src0_sel:WORD_1 src1_sel:DWORD
	v_fma_f16 v9, v85, v9, -v12
	s_waitcnt vmcnt(6)
	v_lshrrev_b32_e32 v12, 16, v15
	v_fmac_f16_e32 v8, v86, v13
	v_mul_f16_sdwa v13, v84, v15 dst_sel:DWORD dst_unused:UNUSED_PAD src0_sel:WORD_1 src1_sel:DWORD
	ds_write2_b32 v3, v6, v10 offset0:76 offset1:223
	v_fmac_f16_e32 v11, v85, v14
	s_waitcnt vmcnt(5)
	v_lshrrev_b32_e32 v10, 16, v16
	v_mul_f16_sdwa v6, v84, v12 dst_sel:DWORD dst_unused:UNUSED_PAD src0_sel:WORD_1 src1_sel:DWORD
	v_fma_f16 v12, v84, v12, -v13
	v_mul_f16_sdwa v13, v83, v16 dst_sel:DWORD dst_unused:UNUSED_PAD src0_sel:WORD_1 src1_sel:DWORD
	v_pack_b32_f16 v9, v11, v9
	v_mul_f16_sdwa v11, v83, v10 dst_sel:DWORD dst_unused:UNUSED_PAD src0_sel:WORD_1 src1_sel:DWORD
	v_fmac_f16_e32 v6, v84, v15
	s_waitcnt vmcnt(4)
	v_lshrrev_b32_e32 v14, 16, v17
	v_fma_f16 v10, v83, v10, -v13
	v_mul_f16_sdwa v13, v82, v17 dst_sel:DWORD dst_unused:UNUSED_PAD src0_sel:WORD_1 src1_sel:DWORD
	v_fmac_f16_e32 v11, v83, v16
	s_waitcnt vmcnt(3)
	v_lshrrev_b32_e32 v15, 16, v5
	v_fma_f16 v19, v86, v19, -v30
	s_waitcnt vmcnt(2)
	v_lshrrev_b32_e32 v16, 16, v18
	v_pack_b32_f16 v12, v6, v12
	v_mul_f16_sdwa v6, v82, v14 dst_sel:DWORD dst_unused:UNUSED_PAD src0_sel:WORD_1 src1_sel:DWORD
	v_fma_f16 v13, v82, v14, -v13
	s_waitcnt vmcnt(1)
	v_mul_f16_sdwa v14, v81, v5 dst_sel:DWORD dst_unused:UNUSED_PAD src0_sel:WORD_1 src1_sel:DWORD
	v_pack_b32_f16 v10, v11, v10
	v_mul_f16_sdwa v11, v81, v15 dst_sel:DWORD dst_unused:UNUSED_PAD src0_sel:WORD_1 src1_sel:DWORD
	v_pack_b32_f16 v8, v8, v19
	s_waitcnt vmcnt(0)
	v_mul_f16_sdwa v19, v80, v16 dst_sel:DWORD dst_unused:UNUSED_PAD src0_sel:WORD_1 src1_sel:DWORD
	v_mul_f16_sdwa v29, v80, v18 dst_sel:DWORD dst_unused:UNUSED_PAD src0_sel:WORD_1 src1_sel:DWORD
	v_fmac_f16_e32 v6, v82, v17
	v_fma_f16 v14, v81, v15, -v14
	v_fmac_f16_e32 v11, v81, v5
	v_fmac_f16_e32 v19, v80, v18
	v_fma_f16 v15, v80, v16, -v29
	v_add_nc_u32_e32 v5, 0x1200, v79
	v_pack_b32_f16 v13, v6, v13
	v_add_nc_u32_e32 v6, 0x1600, v79
	v_pack_b32_f16 v11, v11, v14
	v_pack_b32_f16 v14, v19, v15
	ds_write2_b32 v4, v8, v9 offset0:50 offset1:197
	ds_write2_b32 v5, v12, v10 offset0:24 offset1:171
	;; [unrolled: 1-line block ×3, first 2 shown]
	ds_write_b32 v79, v14 offset:7056
	s_and_saveexec_b32 s12, vcc_lo
	s_cbranch_execz .LBB0_3
; %bb.2:
	v_mad_u64_u32 v[0:1], null, 0xffffe5dc, s0, v[0:1]
	s_mulk_i32 s1, 0xe5dc
	v_add_nc_u32_e32 v41, 0x600, v79
	s_sub_i32 s0, s1, s0
	v_add_nc_u32_e32 v42, 0xa00, v79
	v_add_nc_u32_e32 v46, 0xe00, v79
	;; [unrolled: 1-line block ×3, first 2 shown]
	s_clause 0x2
	global_load_dword v9, v[26:27], off offset:364
	global_load_dword v10, v[26:27], off offset:952
	;; [unrolled: 1-line block ×3, first 2 shown]
	global_load_dword v12, v[0:1], off
	v_add_co_u32 v0, s0, v0, s2
	v_add_co_ci_u32_e64 v1, s0, s3, v1, s0
	global_load_dword v13, v[24:25], off offset:80
	v_add_co_u32 v7, s0, v0, s2
	v_add_co_ci_u32_e64 v8, s0, s3, v1, s0
	global_load_dword v14, v[0:1], off
	v_add_co_u32 v0, s0, v7, s2
	v_add_co_ci_u32_e64 v1, s0, s3, v8, s0
	global_load_dword v15, v[7:8], off
	;; [unrolled: 3-line block ×4, first 2 shown]
	v_add_co_u32 v7, s0, v0, s2
	v_add_co_ci_u32_e64 v8, s0, s3, v1, s0
	s_clause 0x1
	global_load_dword v18, v[24:25], off offset:668
	global_load_dword v19, v[24:25], off offset:1256
	global_load_dword v29, v[0:1], off
	global_load_dword v30, v[7:8], off
	v_add_co_u32 v0, s0, v7, s2
	v_add_co_ci_u32_e64 v1, s0, s3, v8, s0
	s_clause 0x3
	global_load_dword v31, v[24:25], off offset:1844
	global_load_dword v32, v[22:23], off offset:384
	;; [unrolled: 1-line block ×4, first 2 shown]
	v_add_co_u32 v7, s0, v0, s2
	v_add_co_ci_u32_e64 v8, s0, s3, v1, s0
	global_load_dword v35, v[0:1], off
	v_add_co_u32 v0, s0, v7, s2
	v_add_co_ci_u32_e64 v1, s0, s3, v8, s0
	global_load_dword v36, v[7:8], off
	;; [unrolled: 3-line block ×4, first 2 shown]
	v_add_co_u32 v7, s0, v0, s2
	v_add_co_ci_u32_e64 v8, s0, s3, v1, s0
	global_load_dword v39, v[20:21], off offset:100
	global_load_dword v0, v[0:1], off
	global_load_dword v1, v[7:8], off
	s_clause 0x1
	global_load_dword v7, v[20:21], off offset:688
	global_load_dword v8, v[20:21], off offset:1276
	s_waitcnt vmcnt(22)
	v_lshrrev_b32_e32 v40, 16, v12
	v_mul_f16_sdwa v43, v9, v12 dst_sel:DWORD dst_unused:UNUSED_PAD src0_sel:WORD_1 src1_sel:DWORD
	v_mul_f16_sdwa v44, v9, v40 dst_sel:DWORD dst_unused:UNUSED_PAD src0_sel:WORD_1 src1_sel:DWORD
	v_fma_f16 v40, v9, v40, -v43
	s_waitcnt vmcnt(20)
	v_lshrrev_b32_e32 v45, 16, v14
	v_mul_f16_sdwa v47, v10, v14 dst_sel:DWORD dst_unused:UNUSED_PAD src0_sel:WORD_1 src1_sel:DWORD
	v_fmac_f16_e32 v44, v9, v12
	v_mul_f16_sdwa v9, v10, v45 dst_sel:DWORD dst_unused:UNUSED_PAD src0_sel:WORD_1 src1_sel:DWORD
	s_waitcnt vmcnt(19)
	v_lshrrev_b32_e32 v12, 16, v15
	v_fma_f16 v43, v10, v45, -v47
	v_mul_f16_sdwa v45, v11, v15 dst_sel:DWORD dst_unused:UNUSED_PAD src0_sel:WORD_1 src1_sel:DWORD
	v_pack_b32_f16 v40, v44, v40
	v_fmac_f16_e32 v9, v10, v14
	v_mul_f16_sdwa v10, v11, v12 dst_sel:DWORD dst_unused:UNUSED_PAD src0_sel:WORD_1 src1_sel:DWORD
	s_waitcnt vmcnt(18)
	v_lshrrev_b32_e32 v14, 16, v16
	v_mul_f16_sdwa v44, v13, v16 dst_sel:DWORD dst_unused:UNUSED_PAD src0_sel:WORD_1 src1_sel:DWORD
	v_fma_f16 v12, v11, v12, -v45
	v_pack_b32_f16 v9, v9, v43
	v_fmac_f16_e32 v10, v11, v15
	v_mul_f16_sdwa v11, v13, v14 dst_sel:DWORD dst_unused:UNUSED_PAD src0_sel:WORD_1 src1_sel:DWORD
	v_fma_f16 v14, v13, v14, -v44
	s_waitcnt vmcnt(17)
	v_lshrrev_b32_e32 v15, 16, v17
	ds_write2_b32 v79, v40, v9 offset0:91 offset1:238
	v_pack_b32_f16 v9, v10, v12
	v_fmac_f16_e32 v11, v13, v16
	s_waitcnt vmcnt(14)
	v_lshrrev_b32_e32 v12, 16, v29
	v_mul_f16_sdwa v43, v18, v17 dst_sel:DWORD dst_unused:UNUSED_PAD src0_sel:WORD_1 src1_sel:DWORD
	v_mul_f16_sdwa v10, v18, v15 dst_sel:DWORD dst_unused:UNUSED_PAD src0_sel:WORD_1 src1_sel:DWORD
	;; [unrolled: 1-line block ×3, first 2 shown]
	v_pack_b32_f16 v11, v11, v14
	v_mul_f16_sdwa v14, v19, v12 dst_sel:DWORD dst_unused:UNUSED_PAD src0_sel:WORD_1 src1_sel:DWORD
	v_fma_f16 v15, v18, v15, -v43
	v_fmac_f16_e32 v10, v18, v17
	v_fma_f16 v12, v19, v12, -v13
	s_waitcnt vmcnt(13)
	v_lshrrev_b32_e32 v13, 16, v30
	ds_write2_b32 v41, v9, v11 offset0:1 offset1:148
	v_fmac_f16_e32 v14, v19, v29
	s_waitcnt vmcnt(8)
	v_lshrrev_b32_e32 v11, 16, v35
	v_mul_f16_sdwa v16, v31, v30 dst_sel:DWORD dst_unused:UNUSED_PAD src0_sel:WORD_1 src1_sel:DWORD
	v_pack_b32_f16 v9, v10, v15
	v_mul_f16_sdwa v10, v31, v13 dst_sel:DWORD dst_unused:UNUSED_PAD src0_sel:WORD_1 src1_sel:DWORD
	v_mul_f16_sdwa v15, v32, v35 dst_sel:DWORD dst_unused:UNUSED_PAD src0_sel:WORD_1 src1_sel:DWORD
	v_pack_b32_f16 v12, v14, v12
	v_mul_f16_sdwa v14, v32, v11 dst_sel:DWORD dst_unused:UNUSED_PAD src0_sel:WORD_1 src1_sel:DWORD
	v_fma_f16 v13, v31, v13, -v16
	v_fmac_f16_e32 v10, v31, v30
	s_waitcnt vmcnt(7)
	v_lshrrev_b32_e32 v16, 16, v36
	v_fma_f16 v11, v32, v11, -v15
	v_mul_f16_sdwa v15, v33, v36 dst_sel:DWORD dst_unused:UNUSED_PAD src0_sel:WORD_1 src1_sel:DWORD
	v_fmac_f16_e32 v14, v32, v35
	s_waitcnt vmcnt(6)
	v_lshrrev_b32_e32 v17, 16, v37
	v_pack_b32_f16 v10, v10, v13
	v_mul_f16_sdwa v13, v33, v16 dst_sel:DWORD dst_unused:UNUSED_PAD src0_sel:WORD_1 src1_sel:DWORD
	v_fma_f16 v15, v33, v16, -v15
	v_mul_f16_sdwa v16, v34, v37 dst_sel:DWORD dst_unused:UNUSED_PAD src0_sel:WORD_1 src1_sel:DWORD
	v_pack_b32_f16 v11, v14, v11
	v_mul_f16_sdwa v14, v34, v17 dst_sel:DWORD dst_unused:UNUSED_PAD src0_sel:WORD_1 src1_sel:DWORD
	v_fmac_f16_e32 v13, v33, v36
	s_waitcnt vmcnt(5)
	v_lshrrev_b32_e32 v18, 16, v38
	v_fma_f16 v16, v34, v17, -v16
	s_waitcnt vmcnt(4)
	v_mul_f16_sdwa v17, v39, v38 dst_sel:DWORD dst_unused:UNUSED_PAD src0_sel:WORD_1 src1_sel:DWORD
	v_fmac_f16_e32 v14, v34, v37
	s_waitcnt vmcnt(3)
	v_lshrrev_b32_e32 v19, 16, v0
	s_waitcnt vmcnt(2)
	v_lshrrev_b32_e32 v29, 16, v1
	v_pack_b32_f16 v13, v13, v15
	v_mul_f16_sdwa v15, v39, v18 dst_sel:DWORD dst_unused:UNUSED_PAD src0_sel:WORD_1 src1_sel:DWORD
	v_fma_f16 v17, v39, v18, -v17
	s_waitcnt vmcnt(1)
	v_mul_f16_sdwa v18, v7, v0 dst_sel:DWORD dst_unused:UNUSED_PAD src0_sel:WORD_1 src1_sel:DWORD
	v_pack_b32_f16 v14, v14, v16
	v_mul_f16_sdwa v16, v7, v19 dst_sel:DWORD dst_unused:UNUSED_PAD src0_sel:WORD_1 src1_sel:DWORD
	s_waitcnt vmcnt(0)
	v_mul_f16_sdwa v30, v8, v29 dst_sel:DWORD dst_unused:UNUSED_PAD src0_sel:WORD_1 src1_sel:DWORD
	v_mul_f16_sdwa v31, v8, v1 dst_sel:DWORD dst_unused:UNUSED_PAD src0_sel:WORD_1 src1_sel:DWORD
	v_fmac_f16_e32 v15, v39, v38
	v_fma_f16 v18, v7, v19, -v18
	v_fmac_f16_e32 v16, v7, v0
	v_fmac_f16_e32 v30, v8, v1
	v_fma_f16 v0, v8, v29, -v31
	v_add_nc_u32_e32 v1, 0x1300, v79
	v_pack_b32_f16 v7, v15, v17
	v_pack_b32_f16 v8, v16, v18
	v_add_nc_u32_e32 v15, 0x1800, v79
	v_pack_b32_f16 v0, v30, v0
	ds_write2_b32 v42, v9, v12 offset0:39 offset1:186
	ds_write2_b32 v46, v10, v11 offset0:77 offset1:224
	;; [unrolled: 1-line block ×4, first 2 shown]
	ds_write_b32 v79, v0 offset:7420
.LBB0_3:
	s_or_b32 exec_lo, exec_lo, s12
	s_waitcnt lgkmcnt(0)
	s_barrier
	buffer_gl0_inv
	ds_read2_b32 v[12:13], v79 offset1:147
	ds_read2_b32 v[18:19], v2 offset0:38 offset1:185
	ds_read2_b32 v[29:30], v3 offset0:76 offset1:223
	;; [unrolled: 1-line block ×5, first 2 shown]
	ds_read_b32 v64, v79 offset:7056
	s_load_dwordx2 s[2:3], s[4:5], 0x8
	v_mov_b32_e32 v4, 0
                                        ; implicit-def: $vgpr33
                                        ; implicit-def: $vgpr1
                                        ; implicit-def: $vgpr3
                                        ; implicit-def: $vgpr7
                                        ; implicit-def: $vgpr9
                                        ; implicit-def: $vgpr11
	s_and_saveexec_b32 s0, vcc_lo
	s_cbranch_execz .LBB0_5
; %bb.4:
	v_add_nc_u32_e32 v0, 0x600, v79
	v_add_nc_u32_e32 v1, 0xa00, v79
	;; [unrolled: 1-line block ×5, first 2 shown]
	ds_read2_b32 v[4:5], v79 offset0:91 offset1:238
	ds_read2_b32 v[10:11], v0 offset0:1 offset1:148
	;; [unrolled: 1-line block ×6, first 2 shown]
	ds_read_b32 v33, v79 offset:7420
.LBB0_5:
	s_or_b32 exec_lo, exec_lo, s0
	s_waitcnt lgkmcnt(0)
	v_pk_add_f16 v34, v5, v33 neg_lo:[0,1] neg_hi:[0,1]
	v_mov_b32_e32 v60, 0xbb7b
	v_pk_add_f16 v35, v33, v5
	v_mov_b32_e32 v50, 0xb94e
	v_pk_add_f16 v36, v10, v1 neg_lo:[0,1] neg_hi:[0,1]
	v_mov_b32_e32 v75, 0x394e
	v_mul_f16_sdwa v43, v34, v60 dst_sel:DWORD dst_unused:UNUSED_PAD src0_sel:WORD_1 src1_sel:DWORD
	v_mov_b32_e32 v67, 0x3bf1
	v_mul_f16_sdwa v51, v34, v50 dst_sel:DWORD dst_unused:UNUSED_PAD src0_sel:WORD_1 src1_sel:DWORD
	v_pk_add_f16 v37, v1, v10
	v_mul_f16_sdwa v47, v36, v75 dst_sel:DWORD dst_unused:UNUSED_PAD src0_sel:WORD_1 src1_sel:DWORD
	v_fmamk_f16 v38, v35, 0xb5ac, v43
	v_mul_f16_sdwa v52, v36, v67 dst_sel:DWORD dst_unused:UNUSED_PAD src0_sel:WORD_1 src1_sel:DWORD
	v_fmamk_f16 v39, v35, 0xb9fd, v51
	v_mov_b32_e32 v63, 0x3770
	v_fmamk_f16 v42, v37, 0xb9fd, v47
	v_add_f16_e32 v40, v38, v4
	v_pk_add_f16 v38, v11, v0 neg_lo:[0,1] neg_hi:[0,1]
	v_pk_add_f16 v46, v12, v13
	v_mov_b32_e32 v61, 0xbbf1
	v_add_f16_e32 v39, v39, v4
	v_fmamk_f16 v44, v37, 0x2fb7, v52
	v_pk_add_f16 v41, v0, v11
	v_mul_f16_sdwa v48, v38, v63 dst_sel:DWORD dst_unused:UNUSED_PAD src0_sel:WORD_1 src1_sel:DWORD
	v_mov_b32_e32 v62, 0xba95
	v_add_f16_e32 v42, v42, v40
	v_pk_add_f16 v40, v8, v3 neg_lo:[0,1] neg_hi:[0,1]
	v_pk_add_f16 v46, v46, v18
	v_add_f16_e32 v45, v44, v39
	v_fmamk_f16 v44, v41, 0x3b15, v48
	v_mul_f16_sdwa v54, v38, v62 dst_sel:DWORD dst_unused:UNUSED_PAD src0_sel:WORD_1 src1_sel:DWORD
	v_pk_add_f16 v39, v3, v8
	v_mul_f16_sdwa v53, v40, v61 dst_sel:DWORD dst_unused:UNUSED_PAD src0_sel:WORD_1 src1_sel:DWORD
	v_mov_b32_e32 v74, 0x33a8
	v_pk_add_f16 v46, v46, v19
	v_add_f16_e32 v49, v44, v42
	v_pk_add_f16 v42, v9, v2 neg_lo:[0,1] neg_hi:[0,1]
	v_fmamk_f16 v55, v41, 0x388b, v54
	v_fmamk_f16 v57, v39, 0x2fb7, v53
	v_mul_f16_sdwa v59, v40, v74 dst_sel:DWORD dst_unused:UNUSED_PAD src0_sel:WORD_1 src1_sel:DWORD
	v_pk_add_f16 v58, v46, v29
	v_pk_add_f16 v44, v2, v9
	v_add_f16_e32 v45, v55, v45
	v_add_f16_e32 v49, v57, v49
	v_fmamk_f16 v55, v39, 0xbbc4, v59
	v_mul_f16_sdwa v57, v42, v63 dst_sel:DWORD dst_unused:UNUSED_PAD src0_sel:WORD_1 src1_sel:DWORD
	v_pk_add_f16 v69, v58, v30
	v_mul_f16_sdwa v56, v42, v74 dst_sel:DWORD dst_unused:UNUSED_PAD src0_sel:WORD_1 src1_sel:DWORD
	v_mov_b32_e32 v77, 0xb770
	v_add_f16_e32 v66, v55, v45
	v_fmamk_f16 v68, v44, 0x3b15, v57
	v_pk_add_f16 v69, v69, v16
	v_fmamk_f16 v65, v44, 0xbbc4, v56
	v_pk_add_f16 v104, v13, v64 neg_lo:[0,1] neg_hi:[0,1]
	v_pk_add_f16 v105, v29, v32 neg_lo:[0,1] neg_hi:[0,1]
	v_add_f16_e32 v95, v68, v66
	v_pk_add_f16 v68, v69, v17
	v_add_f16_e32 v49, v65, v49
	v_pk_add_f16 v65, v32, v29
	v_pk_add_f16 v66, v31, v30
	;; [unrolled: 1-line block ×4, first 2 shown]
	v_mul_f16_sdwa v107, v104, v77 dst_sel:DWORD dst_unused:UNUSED_PAD src0_sel:WORD_1 src1_sel:DWORD
	v_pk_add_f16 v108, v18, v15 neg_lo:[0,1] neg_hi:[0,1]
	v_pk_add_f16 v109, v30, v31 neg_lo:[0,1] neg_hi:[0,1]
	v_pk_add_f16 v31, v15, v18
	v_pk_add_f16 v29, v29, v32
	v_fma_f16 v30, v106, 0x3b15, -v107
	v_mul_f16_sdwa v18, v108, v62 dst_sel:DWORD dst_unused:UNUSED_PAD src0_sel:WORD_1 src1_sel:DWORD
	v_pk_mul_f16 v32, 0x3b15388b, v106
	v_pk_mul_f16 v68, 0x388bb5ac, v31
	v_lshrrev_b32_e32 v113, 16, v106
	v_mul_f16_e32 v114, 0xba95, v104
	v_pk_add_f16 v13, v14, v19
	v_pk_add_f16 v110, v19, v14 neg_lo:[0,1] neg_hi:[0,1]
	v_add_f16_e32 v19, v12, v30
	v_fma_f16 v30, v31, 0x388b, -v18
	v_pk_fma_f16 v111, 0xba95b770, v104, v32 op_sel:[0,0,1] op_sel_hi:[1,1,0] neg_lo:[0,1,0] neg_hi:[0,1,0]
	v_pk_fma_f16 v112, 0xba95b770, v104, v32 op_sel:[0,0,1] op_sel_hi:[1,1,0]
	v_pk_fma_f16 v32, 0xbb7bba95, v108, v68 op_sel:[0,0,1] op_sel_hi:[1,1,0] neg_lo:[0,1,0] neg_hi:[0,1,0]
	v_pk_fma_f16 v94, 0xbb7bba95, v108, v68 op_sel:[0,0,1] op_sel_hi:[1,1,0]
	v_fmamk_f16 v68, v113, 0x388b, v114
	v_lshrrev_b32_e32 v96, 16, v31
	v_mul_f16_e32 v98, 0xbb7b, v108
	v_add_f16_e32 v30, v30, v19
	v_bfi_b32 v19, 0xffff, v112, v111
	v_pk_mul_f16 v70, 0x2fb7bbc4, v13
	v_add_f16_sdwa v72, v12, v68 dst_sel:DWORD dst_unused:UNUSED_PAD src0_sel:WORD_1 src1_sel:DWORD
	v_fmamk_f16 v73, v96, 0xb5ac, v98
	v_mul_f16_sdwa v68, v110, v61 dst_sel:DWORD dst_unused:UNUSED_PAD src0_sel:WORD_1 src1_sel:DWORD
	v_pk_add_f16 v69, v12, v19 op_sel:[1,0] op_sel_hi:[0,1]
	v_bfi_b32 v71, 0xffff, v94, v32
	v_pk_fma_f16 v19, 0xb3a8bbf1, v110, v70 op_sel:[0,0,1] op_sel_hi:[1,1,0] neg_lo:[0,1,0] neg_hi:[0,1,0]
	v_pk_fma_f16 v97, 0xb3a8bbf1, v110, v70 op_sel:[0,0,1] op_sel_hi:[1,1,0]
	v_add_f16_e32 v72, v73, v72
	v_fma_f16 v73, v13, 0x2fb7, -v68
	v_pk_mul_f16 v76, 0xb5acb9fd, v65
	v_lshrrev_b32_e32 v100, 16, v13
	v_mul_f16_e32 v115, 0xb3a8, v110
	v_pk_add_f16 v69, v71, v69
	v_bfi_b32 v101, 0xffff, v97, v19
	v_mul_f16_sdwa v71, v105, v60 dst_sel:DWORD dst_unused:UNUSED_PAD src0_sel:WORD_1 src1_sel:DWORD
	v_pk_fma_f16 v70, 0x394ebb7b, v105, v76 op_sel:[0,0,1] op_sel_hi:[1,1,0] neg_lo:[0,1,0] neg_hi:[0,1,0]
	v_pk_fma_f16 v99, 0x394ebb7b, v105, v76 op_sel:[0,0,1] op_sel_hi:[1,1,0]
	v_add_f16_e32 v30, v73, v30
	v_fmamk_f16 v73, v100, 0xbbc4, v115
	v_pk_add_f16 v69, v101, v69
	v_fma_f16 v76, v65, 0xb5ac, -v71
	v_bfi_b32 v116, 0xffff, v99, v70
	v_lshrrev_b32_e32 v101, 16, v65
	v_mul_f16_e32 v117, 0x394e, v105
	v_add_f16_e32 v118, v73, v72
	v_pk_mul_f16 v119, 0xb9fd2fb7, v66
	v_pk_add_f16 v73, v17, v16
	v_add_f16_e32 v30, v76, v30
	v_pk_add_f16 v116, v116, v69
	v_fmamk_f16 v76, v101, 0xb9fd, v117
	v_pk_fma_f16 v69, 0x3bf1b94e, v109, v119 op_sel:[0,0,1] op_sel_hi:[1,1,0] neg_lo:[0,1,0] neg_hi:[0,1,0]
	v_pk_fma_f16 v119, 0x3bf1b94e, v109, v119 op_sel:[0,0,1] op_sel_hi:[1,1,0]
	v_lshrrev_b32_e32 v120, 16, v66
	v_mul_f16_e32 v121, 0x3bf1, v109
	v_pk_add_f16 v122, v16, v17 neg_lo:[0,1] neg_hi:[0,1]
	v_pk_mul_f16 v123, 0xbbc43b15, v73
	v_pk_add_f16 v46, v6, v7 neg_lo:[0,1] neg_hi:[0,1]
	v_mul_f16_sdwa v72, v109, v50 dst_sel:DWORD dst_unused:UNUSED_PAD src0_sel:WORD_1 src1_sel:DWORD
	v_add_f16_e32 v17, v76, v118
	v_bfi_b32 v124, 0xffff, v119, v69
	v_fmamk_f16 v125, v120, 0x2fb7, v121
	v_pk_fma_f16 v16, 0x3770b3a8, v122, v123 op_sel:[0,0,1] op_sel_hi:[1,1,0] neg_lo:[0,1,0] neg_hi:[0,1,0]
	v_pk_fma_f16 v126, 0x3770b3a8, v122, v123 op_sel:[0,0,1] op_sel_hi:[1,1,0]
	v_mov_b32_e32 v76, 0xb3a8
	v_mov_b32_e32 v78, 0x3a95
	v_pk_add_f16 v45, v7, v6
	v_mul_f16_sdwa v58, v46, v60 dst_sel:DWORD dst_unused:UNUSED_PAD src0_sel:WORD_1 src1_sel:DWORD
	v_fma_f16 v118, v66, 0xb9fd, -v72
	v_lshrrev_b32_e32 v127, 16, v73
	v_mul_f16_e32 v128, 0x3770, v122
	v_pk_add_f16 v116, v124, v116
	v_add_f16_e32 v124, v125, v17
	v_bfi_b32 v125, 0xffff, v126, v16
	v_mul_f16_sdwa v17, v122, v76 dst_sel:DWORD dst_unused:UNUSED_PAD src0_sel:WORD_1 src1_sel:DWORD
	v_mul_f16_sdwa v55, v46, v78 dst_sel:DWORD dst_unused:UNUSED_PAD src0_sel:WORD_1 src1_sel:DWORD
	v_fmamk_f16 v103, v45, 0xb5ac, v58
	v_fmamk_f16 v126, v127, 0x3b15, v128
	v_pk_add_f16 v14, v29, v14
	v_add_f16_e32 v118, v118, v30
	v_pk_add_f16 v116, v125, v116
	v_fma_f16 v125, v73, 0xbbc4, -v17
	v_fmamk_f16 v102, v45, 0x388b, v55
	v_add_f16_e32 v124, v126, v124
	v_add_f16_e32 v29, v103, v95
	v_pk_add_f16 v14, v14, v15
	v_add_f16_e32 v15, v125, v118
	v_mul_f16_sdwa v103, v104, v61 dst_sel:DWORD dst_unused:UNUSED_PAD src0_sel:WORD_1 src1_sel:DWORD
	v_add_f16_e32 v30, v102, v49
	v_alignbit_b32 v102, v124, v116, 16
	v_mul_f16_e32 v118, 0xbbf1, v104
	v_pack_b32_f16 v15, v15, v116
	v_fma_f16 v116, v106, 0x2fb7, -v103
	v_mul_f16_sdwa v124, v108, v76 dst_sel:DWORD dst_unused:UNUSED_PAD src0_sel:WORD_1 src1_sel:DWORD
	v_mul_f16_e32 v126, 0xb3a8, v108
	v_fmamk_f16 v125, v113, 0x2fb7, v118
	v_mul_f16_sdwa v130, v104, v60 dst_sel:DWORD dst_unused:UNUSED_PAD src0_sel:WORD_1 src1_sel:DWORD
	v_add_f16_e32 v116, v12, v116
	v_fma_f16 v129, v31, 0xbbc4, -v124
	v_fmamk_f16 v131, v96, 0xbbc4, v126
	v_add_f16_sdwa v125, v12, v125 dst_sel:DWORD dst_unused:UNUSED_PAD src0_sel:WORD_1 src1_sel:DWORD
	v_fma_f16 v132, v106, 0xb5ac, -v130
	v_mul_f16_sdwa v75, v108, v75 dst_sel:DWORD dst_unused:UNUSED_PAD src0_sel:WORD_1 src1_sel:DWORD
	v_add_f16_e32 v116, v129, v116
	v_mul_f16_e32 v129, 0xbb7b, v104
	v_add_f16_e32 v125, v131, v125
	v_mov_b32_e32 v131, 0x3b7b
	v_mul_f16_e32 v134, 0x394e, v108
	v_add_f16_e32 v132, v12, v132
	v_fmamk_f16 v133, v113, 0xb5ac, v129
	v_fma_f16 v135, v31, 0xb9fd, -v75
	v_mul_f16_sdwa v136, v110, v131 dst_sel:DWORD dst_unused:UNUSED_PAD src0_sel:WORD_1 src1_sel:DWORD
	v_mul_f16_e32 v137, 0x3b7b, v110
	v_fmamk_f16 v138, v96, 0xb9fd, v134
	v_add_f16_sdwa v133, v12, v133 dst_sel:DWORD dst_unused:UNUSED_PAD src0_sel:WORD_1 src1_sel:DWORD
	v_mul_f16_sdwa v139, v110, v63 dst_sel:DWORD dst_unused:UNUSED_PAD src0_sel:WORD_1 src1_sel:DWORD
	v_fma_f16 v140, v13, 0xb5ac, -v136
	v_add_f16_e32 v132, v135, v132
	v_fmamk_f16 v135, v100, 0xb5ac, v137
	v_add_f16_e32 v133, v138, v133
	v_fma_f16 v138, v13, 0x3b15, -v139
	v_add_f16_e32 v116, v140, v116
	v_mul_f16_e32 v140, 0x3770, v110
	v_add_f16_e32 v125, v135, v125
	v_mul_f16_sdwa v135, v105, v63 dst_sel:DWORD dst_unused:UNUSED_PAD src0_sel:WORD_1 src1_sel:DWORD
	v_add_f16_e32 v132, v138, v132
	v_mul_f16_e32 v138, 0x3770, v105
	v_fmamk_f16 v141, v100, 0x3b15, v140
	v_mul_f16_sdwa v142, v105, v61 dst_sel:DWORD dst_unused:UNUSED_PAD src0_sel:WORD_1 src1_sel:DWORD
	v_fma_f16 v143, v65, 0x3b15, -v135
	v_mul_f16_e32 v144, 0xbbf1, v105
	v_fmamk_f16 v145, v101, 0x3b15, v138
	v_add_f16_e32 v133, v141, v133
	v_fma_f16 v141, v65, 0x2fb7, -v142
	v_add_f16_e32 v116, v143, v116
	v_fmamk_f16 v143, v101, 0x2fb7, v144
	v_add_f16_e32 v125, v145, v125
	v_mul_f16_sdwa v145, v109, v62 dst_sel:DWORD dst_unused:UNUSED_PAD src0_sel:WORD_1 src1_sel:DWORD
	v_add_f16_e32 v132, v141, v132
	v_mul_f16_e32 v141, 0xba95, v109
	v_add_f16_e32 v133, v143, v133
	v_mul_f16_sdwa v143, v109, v74 dst_sel:DWORD dst_unused:UNUSED_PAD src0_sel:WORD_1 src1_sel:DWORD
	v_fma_f16 v146, v66, 0x388b, -v145
	v_mul_f16_e32 v147, 0x33a8, v109
	v_fmamk_f16 v148, v120, 0x388b, v141
	v_mul_f16_sdwa v149, v122, v50 dst_sel:DWORD dst_unused:UNUSED_PAD src0_sel:WORD_1 src1_sel:DWORD
	v_fma_f16 v150, v66, 0xbbc4, -v143
	v_add_f16_e32 v116, v146, v116
	v_fmamk_f16 v146, v120, 0xbbc4, v147
	v_add_f16_e32 v125, v148, v125
	v_fma_f16 v148, v73, 0xb9fd, -v149
	v_add_f16_e32 v132, v150, v132
	v_mul_f16_sdwa v150, v104, v50 dst_sel:DWORD dst_unused:UNUSED_PAD src0_sel:WORD_1 src1_sel:DWORD
	v_add_f16_e32 v133, v146, v133
	v_mul_f16_e32 v146, 0xb94e, v104
	v_add_f16_e32 v116, v148, v116
	v_mul_f16_sdwa v67, v108, v67 dst_sel:DWORD dst_unused:UNUSED_PAD src0_sel:WORD_1 src1_sel:DWORD
	v_fma_f16 v148, v106, 0xb9fd, -v150
	v_mul_f16_e32 v152, 0x3bf1, v108
	v_fmamk_f16 v151, v113, 0xb9fd, v146
	v_mul_f16_sdwa v156, v110, v62 dst_sel:DWORD dst_unused:UNUSED_PAD src0_sel:WORD_1 src1_sel:DWORD
	v_fma_f16 v154, v31, 0x2fb7, -v67
	v_add_f16_e32 v148, v12, v148
	v_fmamk_f16 v155, v96, 0x2fb7, v152
	v_add_f16_sdwa v151, v12, v151 dst_sel:DWORD dst_unused:UNUSED_PAD src0_sel:WORD_1 src1_sel:DWORD
	v_mul_f16_e32 v157, 0xba95, v110
	v_mul_f16_sdwa v74, v105, v74 dst_sel:DWORD dst_unused:UNUSED_PAD src0_sel:WORD_1 src1_sel:DWORD
	v_add_f16_e32 v148, v154, v148
	v_fma_f16 v154, v13, 0x388b, -v156
	v_add_f16_e32 v151, v155, v151
	v_fmamk_f16 v155, v100, 0x388b, v157
	v_mul_f16_e32 v159, 0x33a8, v105
	v_mul_f16_sdwa v161, v109, v63 dst_sel:DWORD dst_unused:UNUSED_PAD src0_sel:WORD_1 src1_sel:DWORD
	v_add_f16_e32 v148, v154, v148
	v_fma_f16 v154, v65, 0xbbc4, -v74
	v_add_f16_e32 v151, v155, v151
	v_fmamk_f16 v155, v101, 0xbbc4, v159
	v_mul_f16_e32 v162, 0x3770, v109
	v_mul_f16_e32 v163, 0xb9fd, v127
	v_mul_f16_sdwa v78, v122, v78 dst_sel:DWORD dst_unused:UNUSED_PAD src0_sel:WORD_1 src1_sel:DWORD
	v_mul_f16_e32 v158, 0x3a95, v122
	v_add_f16_e32 v148, v154, v148
	v_add_f16_e32 v151, v155, v151
	v_fma_f16 v154, v66, 0x3b15, -v161
	v_fmamk_f16 v155, v120, 0x3b15, v162
	v_mul_f16_sdwa v164, v122, v60 dst_sel:DWORD dst_unused:UNUSED_PAD src0_sel:WORD_1 src1_sel:DWORD
	v_mul_f16_e32 v165, 0xbb7b, v122
	v_fmamk_f16 v166, v122, 0xb94e, v163
	v_fma_f16 v153, v73, 0x388b, -v78
	v_fmamk_f16 v160, v127, 0x388b, v158
	v_add_f16_e32 v148, v154, v148
	v_add_f16_e32 v151, v155, v151
	v_fma_f16 v154, v73, 0xb5ac, -v164
	v_fmamk_f16 v155, v127, 0xb5ac, v165
	v_mul_lo_u16 v95, v91, 13
	v_mov_b32_e32 v49, 2
	v_add_f16_e32 v125, v166, v125
	v_add_f16_e32 v132, v153, v132
	;; [unrolled: 1-line block ×5, first 2 shown]
	v_lshlrev_b32_sdwa v95, v49, v95 dst_sel:DWORD dst_unused:UNUSED_PAD src0_sel:DWORD src1_sel:WORD_0
	v_pack_b32_f16 v116, v116, v125
	v_pk_mul_f16 v125, 0xbbc4, v106 op_sel_hi:[0,1]
	v_pack_b32_f16 v132, v132, v133
	v_pk_add_f16 v14, v14, v64
	v_pack_b32_f16 v64, v148, v151
	s_barrier
	buffer_gl0_inv
	ds_write2_b32 v95, v15, v102 offset0:1 offset1:2
	ds_write2_b32 v95, v116, v132 offset0:3 offset1:4
	ds_write2_b32 v95, v14, v64 offset1:5
	v_pk_fma_f16 v15, 0xb3a8, v104, v125 op_sel:[0,0,1] op_sel_hi:[0,1,0] neg_lo:[0,1,0] neg_hi:[0,1,0]
	v_pk_fma_f16 v64, 0xb3a8, v104, v125 op_sel:[0,0,1] op_sel_hi:[0,1,0]
	v_pk_mul_f16 v102, 0x3b15, v31 op_sel_hi:[0,1]
	v_fmac_f16_e32 v107, 0x3b15, v106
	v_fmac_f16_e32 v103, 0x2fb7, v106
	v_pk_add_f16 v15, v12, v15 op_sel:[1,0] op_sel_hi:[0,1]
	v_pk_add_f16 v64, v12, v64 op_sel:[1,0] op_sel_hi:[0,1]
	v_pk_fma_f16 v116, 0x3770, v108, v102 op_sel:[0,0,1] op_sel_hi:[0,1,0] neg_lo:[0,1,0] neg_hi:[0,1,0]
	v_pk_fma_f16 v102, 0x3770, v108, v102 op_sel:[0,0,1] op_sel_hi:[0,1,0]
	v_pk_mul_f16 v108, 0xb9fd, v13 op_sel_hi:[0,1]
	v_fmac_f16_e32 v130, 0xb5ac, v106
	v_fmac_f16_e32 v150, 0xb9fd, v106
	v_pk_add_f16 v15, v116, v15
	v_pk_add_f16 v64, v102, v64
	v_pk_fma_f16 v102, 0xb94e, v110, v108 op_sel:[0,0,1] op_sel_hi:[0,1,0] neg_lo:[0,1,0] neg_hi:[0,1,0]
	v_pk_fma_f16 v108, 0xb94e, v110, v108 op_sel:[0,0,1] op_sel_hi:[0,1,0]
	v_pk_mul_f16 v110, 0x388b, v65 op_sel_hi:[0,1]
	v_pk_mul_f16 v106, 0x2fb7, v73 op_sel_hi:[0,1]
	v_fma_f16 v14, v113, 0x388b, -v114
	v_pk_add_f16 v15, v102, v15
	v_pk_add_f16 v64, v108, v64
	v_pk_fma_f16 v102, 0x3a95, v105, v110 op_sel:[0,0,1] op_sel_hi:[0,1,0] neg_lo:[0,1,0] neg_hi:[0,1,0]
	v_pk_fma_f16 v105, 0x3a95, v105, v110 op_sel:[0,0,1] op_sel_hi:[0,1,0]
	v_pk_mul_f16 v108, 0xb5ac, v66 op_sel_hi:[0,1]
	v_fma_f16 v104, v113, 0x2fb7, -v118
	v_fma_f16 v114, v113, 0xb5ac, -v129
	v_pk_add_f16 v15, v102, v15
	v_pk_add_f16 v64, v105, v64
	v_pk_fma_f16 v102, 0xbb7b, v109, v108 op_sel:[0,0,1] op_sel_hi:[0,1,0] neg_lo:[0,1,0] neg_hi:[0,1,0]
	v_pk_fma_f16 v105, 0xbb7b, v109, v108 op_sel:[0,0,1] op_sel_hi:[0,1,0]
	v_fma_f16 v113, v113, 0xb9fd, -v146
	v_add_f16_e32 v110, v12, v107
	v_pk_add_f16 v107, v12, v112 op_sel:[1,0] op_sel_hi:[0,1]
	v_pk_add_f16 v15, v102, v15
	v_pk_add_f16 v64, v105, v64
	v_pk_fma_f16 v102, 0x3bf1, v122, v106 op_sel:[0,0,1] op_sel_hi:[0,1,0] neg_lo:[0,1,0] neg_hi:[0,1,0]
	v_pk_fma_f16 v105, 0x3bf1, v122, v106 op_sel:[0,0,1] op_sel_hi:[0,1,0]
	v_add_f16_sdwa v14, v12, v14 dst_sel:DWORD dst_unused:UNUSED_PAD src0_sel:WORD_1 src1_sel:DWORD
	v_add_f16_e32 v103, v12, v103
	v_add_f16_sdwa v104, v12, v104 dst_sel:DWORD dst_unused:UNUSED_PAD src0_sel:WORD_1 src1_sel:DWORD
	v_pk_add_f16 v15, v102, v15
	v_pk_add_f16 v64, v105, v64
	v_add_f16_e32 v106, v12, v130
	v_add_f16_sdwa v102, v12, v114 dst_sel:DWORD dst_unused:UNUSED_PAD src0_sel:WORD_1 src1_sel:DWORD
	v_add_f16_e32 v105, v12, v150
	v_add_f16_sdwa v108, v12, v113 dst_sel:DWORD dst_unused:UNUSED_PAD src0_sel:WORD_1 src1_sel:DWORD
	v_add_f16_sdwa v116, v12, v111 dst_sel:DWORD dst_unused:UNUSED_PAD src0_sel:WORD_1 src1_sel:DWORD
	v_alignbit_b32 v130, v15, v64, 16
	v_fmac_f16_e32 v75, 0xb9fd, v31
	v_fma_f16 v12, v96, 0xb9fd, -v134
	v_alignbit_b32 v132, v64, v15, 16
	v_fmac_f16_e32 v67, 0x2fb7, v31
	v_fma_f16 v15, v96, 0x2fb7, -v152
	v_add_f16_e32 v64, v75, v106
	v_add_f16_e32 v12, v12, v102
	v_fmac_f16_e32 v139, 0x3b15, v13
	v_add_f16_e32 v67, v67, v105
	v_add_f16_e32 v15, v15, v108
	v_fma_f16 v75, v100, 0x3b15, -v140
	v_fmac_f16_e32 v156, 0x388b, v13
	v_fma_f16 v102, v100, 0x388b, -v157
	v_add_f16_e32 v64, v139, v64
	v_fmac_f16_e32 v142, 0x2fb7, v65
	v_add_f16_e32 v12, v75, v12
	v_add_f16_e32 v67, v156, v67
	v_fma_f16 v75, v101, 0x2fb7, -v144
	v_add_f16_e32 v15, v102, v15
	v_fmac_f16_e32 v74, 0xbbc4, v65
	v_fma_f16 v102, v101, 0xbbc4, -v159
	v_add_f16_e32 v64, v142, v64
	v_add_f16_e32 v12, v75, v12
	v_fmac_f16_e32 v143, 0xbbc4, v66
	v_fma_f16 v75, v120, 0xbbc4, -v147
	v_add_f16_e32 v67, v74, v67
	v_add_f16_e32 v15, v102, v15
	v_fma_f16 v74, v120, 0x3b15, -v162
	v_add_f16_e32 v64, v143, v64
	v_add_f16_e32 v12, v75, v12
	v_fmac_f16_e32 v78, 0x388b, v73
	v_fma_f16 v75, v127, 0x388b, -v158
	v_add_f16_e32 v15, v74, v15
	v_fma_f16 v74, v127, 0xb5ac, -v165
	v_fmac_f16_e32 v124, 0xbbc4, v31
	v_add_f16_e32 v64, v78, v64
	v_add_f16_e32 v12, v75, v12
	v_fma_f16 v75, v96, 0xb5ac, -v98
	v_fma_f16 v78, v96, 0xbbc4, -v126
	v_add_f16_e32 v15, v74, v15
	v_pk_add_f16 v74, v94, v107
	v_fma_f16 v94, v100, 0xb5ac, -v137
	v_add_f16_e32 v14, v75, v14
	v_add_f16_e32 v75, v78, v104
	v_fma_f16 v78, v100, 0xbbc4, -v115
	v_pk_add_f16 v74, v97, v74
	v_add_f16_e32 v96, v124, v103
	v_fmac_f16_e32 v136, 0xb5ac, v13
	v_add_f16_e32 v75, v94, v75
	v_add_f16_e32 v14, v78, v14
	v_fma_f16 v78, v101, 0xb9fd, -v117
	v_fma_f16 v94, v101, 0x3b15, -v138
	v_pk_add_f16 v74, v99, v74
	v_mul_f16_e32 v97, 0xb94e, v122
	v_fmac_f16_e32 v161, 0x3b15, v66
	v_add_f16_e32 v96, v136, v96
	v_add_f16_e32 v14, v78, v14
	;; [unrolled: 1-line block ×3, first 2 shown]
	v_fma_f16 v78, v120, 0x388b, -v141
	v_pk_mul_f16 v94, 0x3770b3a8, v122
	v_bfi_b32 v97, 0xffff, v97, v74
	v_fmac_f16_e32 v135, 0x3b15, v65
	v_add_f16_e32 v67, v161, v67
	v_fmac_f16_e32 v164, 0xb5ac, v73
	v_fma_f16 v98, v120, 0x2fb7, -v121
	v_pack_b32_f16 v78, v78, v123
	v_bfi_b32 v75, 0xffff, v75, v94
	v_pk_add_f16 v94, v163, v97 neg_lo:[0,1] neg_hi:[0,1]
	v_pk_add_f16 v74, v119, v74
	v_add_f16_e32 v96, v135, v96
	v_fmac_f16_e32 v145, 0x388b, v66
	v_add_f16_e32 v67, v164, v67
	v_add_f16_e32 v14, v98, v14
	v_fma_f16 v97, v127, 0x3b15, -v128
	v_pk_add_f16 v75, v78, v75
	v_bfi_b32 v74, 0xffff, v94, v74
	v_add_f16_e32 v78, v145, v96
	v_fmac_f16_e32 v149, 0xb9fd, v73
	v_pack_b32_f16 v133, v64, v12
	v_pack_b32_f16 v134, v67, v15
	v_add_f16_e32 v14, v97, v14
	v_pk_add_f16 v15, v74, v75
	v_add_f16_e32 v67, v149, v78
	v_mul_f16_sdwa v12, v34, v77 dst_sel:DWORD dst_unused:UNUSED_PAD src0_sel:WORD_1 src1_sel:DWORD
	v_lshrrev_b32_e32 v120, 16, v35
	v_mul_f16_e32 v64, 0xba95, v34
	v_alignbit_b32 v135, v14, v15, 16
	v_pack_b32_f16 v136, v67, v15
	v_fmamk_f16 v15, v35, 0x3b15, v12
	v_mul_f16_sdwa v14, v36, v62 dst_sel:DWORD dst_unused:UNUSED_PAD src0_sel:WORD_1 src1_sel:DWORD
	v_mul_f16_e32 v102, 0xbbf1, v34
	v_fma_f16 v75, v120, 0x388b, -v64
	v_lshrrev_b32_e32 v121, 16, v37
	v_add_f16_e32 v15, v15, v4
	v_fmamk_f16 v77, v37, 0x388b, v14
	v_mul_f16_e32 v67, 0xbb7b, v36
	v_mul_f16_sdwa v74, v34, v61 dst_sel:DWORD dst_unused:UNUSED_PAD src0_sel:WORD_1 src1_sel:DWORD
	v_mul_f16_e32 v112, 0xbb7b, v34
	v_mul_f16_e32 v118, 0xb94e, v34
	v_add_f16_e32 v77, v77, v15
	v_fma_f16 v15, v120, 0x2fb7, -v102
	v_add_f16_sdwa v78, v75, v4 dst_sel:DWORD dst_unused:UNUSED_PAD src0_sel:DWORD src1_sel:WORD_1
	v_fma_f16 v94, v121, 0xb5ac, -v67
	v_fmamk_f16 v96, v35, 0x2fb7, v74
	v_mul_f16_sdwa v75, v36, v76 dst_sel:DWORD dst_unused:UNUSED_PAD src0_sel:WORD_1 src1_sel:DWORD
	v_add_f16_sdwa v97, v15, v4 dst_sel:DWORD dst_unused:UNUSED_PAD src0_sel:DWORD src1_sel:WORD_1
	v_mul_f16_e32 v104, 0xb3a8, v36
	v_fma_f16 v15, v120, 0xb5ac, -v112
	v_fma_f16 v98, v120, 0xb9fd, -v118
	v_mul_f16_e32 v119, 0x3bf1, v36
	v_add_f16_e32 v94, v94, v78
	v_add_f16_e32 v78, v96, v4
	v_fmamk_f16 v96, v37, 0xbbc4, v75
	v_mul_f16_e32 v113, 0x394e, v36
	v_fma_f16 v99, v121, 0xbbc4, -v104
	v_add_f16_sdwa v100, v15, v4 dst_sel:DWORD dst_unused:UNUSED_PAD src0_sel:DWORD src1_sel:WORD_1
	v_add_f16_sdwa v98, v98, v4 dst_sel:DWORD dst_unused:UNUSED_PAD src0_sel:DWORD src1_sel:WORD_1
	v_fma_f16 v103, v121, 0x2fb7, -v119
	v_mul_f16_sdwa v15, v38, v61 dst_sel:DWORD dst_unused:UNUSED_PAD src0_sel:WORD_1 src1_sel:DWORD
	v_fma_f16 v101, v121, 0xb9fd, -v113
	v_add_f16_e32 v61, v96, v78
	v_add_f16_e32 v96, v99, v97
	;; [unrolled: 1-line block ×3, first 2 shown]
	v_fmamk_f16 v99, v41, 0x2fb7, v15
	v_lshrrev_b32_e32 v125, 16, v41
	v_mul_f16_e32 v78, 0xb3a8, v38
	v_mul_f16_sdwa v103, v38, v131 dst_sel:DWORD dst_unused:UNUSED_PAD src0_sel:WORD_1 src1_sel:DWORD
	v_mul_f16_e32 v115, 0x3770, v38
	v_add_f16_e32 v97, v101, v100
	v_mul_f16_e32 v106, 0x3b7b, v38
	v_add_f16_e32 v99, v99, v77
	v_fma_f16 v77, v125, 0xbbc4, -v78
	v_fmamk_f16 v100, v41, 0xb5ac, v103
	v_fma_f16 v105, v125, 0x3b15, -v115
	v_mul_f16_e32 v122, 0xba95, v38
	v_fma_f16 v101, v125, 0xb5ac, -v106
	v_add_f16_e32 v94, v77, v94
	v_add_f16_e32 v61, v100, v61
	;; [unrolled: 1-line block ×3, first 2 shown]
	v_fma_f16 v100, v125, 0x388b, -v122
	v_lshrrev_b32_e32 v126, 16, v39
	v_mul_f16_e32 v77, 0x394e, v40
	v_mul_f16_sdwa v105, v40, v63 dst_sel:DWORD dst_unused:UNUSED_PAD src0_sel:WORD_1 src1_sel:DWORD
	v_add_f16_e32 v96, v101, v96
	v_mul_f16_sdwa v60, v40, v60 dst_sel:DWORD dst_unused:UNUSED_PAD src0_sel:WORD_1 src1_sel:DWORD
	v_add_f16_e32 v98, v100, v98
	v_fma_f16 v100, v126, 0xb9fd, -v77
	v_fmamk_f16 v101, v39, 0x3b15, v105
	v_mul_f16_e32 v117, 0xbbf1, v40
	v_mul_f16_e32 v111, 0x3770, v40
	v_fmamk_f16 v63, v39, 0xb5ac, v60
	v_add_f16_e32 v94, v100, v94
	v_add_f16_e32 v100, v101, v61
	v_fma_f16 v101, v126, 0x2fb7, -v117
	v_mul_f16_sdwa v61, v42, v50 dst_sel:DWORD dst_unused:UNUSED_PAD src0_sel:WORD_1 src1_sel:DWORD
	v_fma_f16 v107, v126, 0x3b15, -v111
	v_add_f16_e32 v99, v63, v99
	v_mul_f16_e32 v124, 0x33a8, v40
	v_lshrrev_b32_e32 v127, 16, v44
	v_mul_f16_e32 v63, 0x3bf1, v42
	v_add_f16_e32 v97, v101, v97
	v_fmamk_f16 v101, v44, 0xb9fd, v61
	v_mul_f16_sdwa v62, v42, v62 dst_sel:DWORD dst_unused:UNUSED_PAD src0_sel:WORD_1 src1_sel:DWORD
	v_add_f16_e32 v96, v107, v96
	v_fma_f16 v107, v126, 0xbbc4, -v124
	v_fma_f16 v108, v127, 0x2fb7, -v63
	v_mul_f16_e32 v114, 0xba95, v42
	v_add_f16_e32 v99, v101, v99
	v_fmamk_f16 v101, v44, 0x388b, v62
	v_pk_mul_f16 v131, 0x3b15388b, v35
	v_add_f16_e32 v98, v107, v98
	v_add_f16_e32 v94, v108, v94
	v_fma_f16 v107, v127, 0x388b, -v114
	v_mul_f16_e32 v123, 0x33a8, v42
	v_add_f16_e32 v100, v101, v100
	v_pk_mul_f16 v101, 0x388bb5ac, v37
	v_pk_fma_f16 v108, 0xba95b770, v34, v131 op_sel:[0,0,1] op_sel_hi:[1,1,0]
	v_add_f16_e32 v137, v107, v96
	v_fma_f16 v96, v127, 0xbbc4, -v123
	v_mul_f16_e32 v128, 0x3770, v42
	v_pk_fma_f16 v109, 0xbb7bba95, v36, v101 op_sel:[0,0,1] op_sel_hi:[1,1,0]
	v_add_f16_sdwa v107, v108, v4 dst_sel:DWORD dst_unused:UNUSED_PAD src0_sel:WORD_1 src1_sel:DWORD
	v_pk_mul_f16 v138, 0x2fb7bbc4, v41
	v_add_f16_e32 v97, v96, v97
	v_fma_f16 v96, v127, 0x3b15, -v128
	v_fmac_f16_e32 v18, 0x388b, v31
	v_add_f16_sdwa v31, v109, v107 dst_sel:DWORD dst_unused:UNUSED_PAD src0_sel:WORD_1 src1_sel:DWORD
	v_pk_fma_f16 v107, 0xb3a8bbf1, v38, v138 op_sel:[0,0,1] op_sel_hi:[1,1,0]
	v_pk_mul_f16 v139, 0xb5acb9fd, v39
	v_add_f16_e32 v140, v96, v98
	v_add_f16_e32 v98, v18, v110
	v_mul_f16_sdwa v18, v46, v76 dst_sel:DWORD dst_unused:UNUSED_PAD src0_sel:WORD_1 src1_sel:DWORD
	v_add_f16_sdwa v31, v107, v31 dst_sel:DWORD dst_unused:UNUSED_PAD src0_sel:WORD_1 src1_sel:DWORD
	v_pk_fma_f16 v76, 0x394ebb7b, v40, v139 op_sel:[0,0,1] op_sel_hi:[1,1,0]
	v_pk_mul_f16 v141, 0xb9fd2fb7, v44
	v_fmac_f16_e32 v68, 0x2fb7, v13
	v_add_f16_e32 v32, v32, v116
	v_fmamk_f16 v13, v45, 0xbbc4, v18
	v_add_f16_sdwa v31, v76, v31 dst_sel:DWORD dst_unused:UNUSED_PAD src0_sel:WORD_1 src1_sel:DWORD
	v_pk_fma_f16 v110, 0x3bf1b94e, v42, v141 op_sel:[0,0,1] op_sel_hi:[1,1,0]
	v_mul_f16_sdwa v116, v46, v50 dst_sel:DWORD dst_unused:UNUSED_PAD src0_sel:WORD_1 src1_sel:DWORD
	v_pk_mul_f16 v50, 0xbbc43b15, v45
	v_add_f16_e32 v96, v13, v99
	v_add_f16_e32 v98, v68, v98
	v_add_f16_sdwa v99, v110, v31 dst_sel:DWORD dst_unused:UNUSED_PAD src0_sel:WORD_1 src1_sel:DWORD
	v_lshrrev_b32_e32 v129, 16, v45
	v_pk_fma_f16 v13, 0x3770b3a8, v46, v50 op_sel:[0,0,1] op_sel_hi:[1,1,0]
	v_mul_f16_e32 v68, 0x3770, v46
	v_fmac_f16_e32 v71, 0xb5ac, v65
	v_add_f16_e32 v19, v19, v32
	v_fmac_f16_e32 v72, 0xb9fd, v66
	v_add_f16_sdwa v32, v13, v99 dst_sel:DWORD dst_unused:UNUSED_PAD src0_sel:WORD_1 src1_sel:DWORD
	v_fma_f16 v65, v129, 0x3b15, -v68
	v_add_f16_e32 v99, v71, v98
	v_pk_fma_f16 v66, 0xba95b770, v34, v131 op_sel:[0,0,1] op_sel_hi:[1,1,0] neg_lo:[0,1,0] neg_hi:[0,1,0]
	v_add_f16_e32 v19, v70, v19
	v_mul_f16_e32 v71, 0xb94e, v46
	v_add_f16_e32 v98, v65, v94
	v_add_f16_e32 v65, v72, v99
	v_pk_fma_f16 v70, 0xbb7bba95, v36, v101 op_sel:[0,0,1] op_sel_hi:[1,1,0] neg_lo:[0,1,0] neg_hi:[0,1,0]
	v_add_f16_sdwa v72, v66, v4 dst_sel:DWORD dst_unused:UNUSED_PAD src0_sel:DWORD src1_sel:WORD_1
	v_fmamk_f16 v31, v45, 0xb9fd, v116
	v_fmac_f16_e32 v17, 0xbbc4, v73
	v_fma_f16 v73, v129, 0xb9fd, -v71
	v_add_f16_e32 v94, v69, v19
	v_pk_fma_f16 v19, 0xb3a8bbf1, v38, v138 op_sel:[0,0,1] op_sel_hi:[1,1,0] neg_lo:[0,1,0] neg_hi:[0,1,0]
	v_add_f16_e32 v72, v70, v72
	v_mul_f16_e32 v69, 0x3a95, v46
	v_add_f16_e32 v31, v31, v100
	v_add_f16_e32 v99, v73, v137
	;; [unrolled: 1-line block ×3, first 2 shown]
	v_pk_fma_f16 v17, 0x394ebb7b, v40, v139 op_sel:[0,0,1] op_sel_hi:[1,1,0] neg_lo:[0,1,0] neg_hi:[0,1,0]
	v_add_f16_e32 v100, v19, v72
	v_fma_f16 v101, v129, 0x388b, -v69
	v_mul_f16_e32 v72, 0xbb7b, v46
	v_add_f16_e32 v16, v16, v94
	v_pk_fma_f16 v65, 0x3bf1b94e, v42, v141 op_sel:[0,0,1] op_sel_hi:[1,1,0] neg_lo:[0,1,0] neg_hi:[0,1,0]
	v_add_f16_e32 v94, v17, v100
	v_add_f16_e32 v100, v101, v97
	v_fma_f16 v97, v129, 0xb5ac, -v72
	v_pack_b32_f16 v73, v73, v16
	v_pk_fma_f16 v16, 0x3770b3a8, v46, v50 op_sel:[0,0,1] op_sel_hi:[1,1,0] neg_lo:[0,1,0] neg_hi:[0,1,0]
	v_add_f16_e32 v94, v65, v94
	v_add_co_u32 v50, s0, 0x5b, v91
	v_add_f16_e32 v101, v97, v140
	v_add_co_ci_u32_e64 v97, null, 0, 0, s0
	v_add_f16_e32 v97, v16, v94
	v_mul_u32_u24_e32 v94, 13, v50
	ds_write2_b32 v95, v132, v130 offset0:6 offset1:7
	ds_write2_b32 v95, v134, v133 offset0:8 offset1:9
	;; [unrolled: 1-line block ×3, first 2 shown]
	ds_write_b32 v95, v73 offset:48
	s_and_saveexec_b32 s0, vcc_lo
	s_cbranch_execz .LBB0_7
; %bb.6:
	v_mul_f16_e32 v131, 0x388b, v120
	v_mul_f16_e32 v133, 0x2fb7, v120
	;; [unrolled: 1-line block ×8, first 2 shown]
	v_add_f16_e32 v118, v118, v120
	v_mul_f16_e32 v136, 0xb9fd, v35
	v_mul_f16_e32 v145, 0xbbc4, v125
	;; [unrolled: 1-line block ×5, first 2 shown]
	v_add_f16_sdwa v118, v118, v4 dst_sel:DWORD dst_unused:UNUSED_PAD src0_sel:DWORD src1_sel:WORD_1
	v_add_f16_e32 v119, v119, v121
	v_mul_f16_e32 v143, 0x2fb7, v37
	v_mul_f16_e32 v152, 0xb9fd, v126
	;; [unrolled: 1-line block ×5, first 2 shown]
	v_add_f16_e32 v118, v119, v118
	v_add_f16_e32 v119, v122, v125
	v_sub_f16_e32 v51, v136, v51
	v_mul_f16_e32 v150, 0x388b, v41
	v_mul_f16_e32 v159, 0x2fb7, v127
	;; [unrolled: 1-line block ×5, first 2 shown]
	v_add_f16_e32 v118, v119, v118
	v_add_f16_e32 v119, v124, v126
	;; [unrolled: 1-line block ×3, first 2 shown]
	v_sub_f16_e32 v52, v143, v52
	v_mul_f16_e32 v134, 0xb5ac, v35
	v_mul_f16_e32 v157, 0xbbc4, v39
	v_add_f16_e32 v118, v119, v118
	v_add_f16_e32 v119, v128, v127
	v_mul_f16_e32 v127, 0xb5ac, v129
	v_add_f16_e32 v112, v112, v135
	v_add_f16_e32 v51, v52, v51
	v_sub_f16_e32 v52, v150, v54
	v_mul_f16_e32 v141, 0xb9fd, v37
	v_mul_f16_e32 v121, 0x3b15, v44
	v_add_f16_e32 v54, v119, v118
	v_add_f16_e32 v72, v72, v127
	v_add_f16_sdwa v112, v112, v4 dst_sel:DWORD dst_unused:UNUSED_PAD src0_sel:DWORD src1_sel:WORD_1
	v_add_f16_e32 v113, v113, v142
	v_add_f16_e32 v51, v52, v51
	v_sub_f16_e32 v52, v157, v59
	v_sub_f16_e32 v43, v134, v43
	v_mul_f16_e32 v148, 0x3b15, v41
	v_mul_f16_e32 v126, 0xb5ac, v45
	v_add_f16_e32 v54, v72, v54
	v_add_f16_e32 v59, v113, v112
	;; [unrolled: 1-line block ×4, first 2 shown]
	v_sub_f16_e32 v52, v121, v57
	v_add_f16_e32 v43, v43, v4
	v_sub_f16_e32 v47, v141, v47
	v_mul_f16_e32 v155, 0x2fb7, v39
	v_add_f16_e32 v57, v72, v59
	v_add_f16_e32 v59, v117, v156
	;; [unrolled: 1-line block ×3, first 2 shown]
	v_sub_f16_e32 v52, v126, v58
	v_add_f16_e32 v43, v47, v43
	v_sub_f16_e32 v47, v148, v48
	v_add_f16_e32 v58, v102, v133
	v_mul_f16_e32 v132, 0x2fb7, v35
	v_mul_f16_e32 v161, 0xbbc4, v44
	;; [unrolled: 1-line block ×3, first 2 shown]
	v_add_f16_e32 v48, v59, v57
	v_add_f16_e32 v57, v123, v162
	;; [unrolled: 1-line block ×4, first 2 shown]
	v_sub_f16_e32 v47, v155, v53
	v_add_f16_sdwa v52, v58, v4 dst_sel:DWORD dst_unused:UNUSED_PAD src0_sel:DWORD src1_sel:WORD_1
	v_add_f16_e32 v53, v104, v140
	v_alignbit_b32 v73, v4, v4, 16
	v_mul_f16_e32 v139, 0xbbc4, v37
	v_add_f16_e32 v48, v57, v48
	v_add_f16_e32 v57, v69, v124
	;; [unrolled: 1-line block ×3, first 2 shown]
	v_sub_f16_e32 v47, v161, v56
	v_sub_f16_e32 v56, v132, v74
	v_add_f16_e32 v52, v53, v52
	v_add_f16_e32 v53, v106, v147
	v_mul_f16_e32 v146, 0xb5ac, v41
	v_mul_f16_e32 v165, 0x388b, v45
	v_add_f16_e32 v48, v57, v48
	v_add_f16_e32 v43, v47, v43
	;; [unrolled: 1-line block ×3, first 2 shown]
	v_sub_f16_e32 v56, v139, v75
	v_add_f16_e32 v52, v53, v52
	v_add_f16_e32 v53, v111, v154
	;; [unrolled: 1-line block ×3, first 2 shown]
	v_pk_add_f16 v5, v5, v73 op_sel:[0,1] op_sel_hi:[1,0]
	v_mul_f16_e32 v153, 0x3b15, v39
	v_sub_f16_e32 v55, v165, v55
	v_add_f16_e32 v47, v56, v47
	v_sub_f16_e32 v56, v146, v103
	v_add_f16_e32 v52, v53, v52
	v_add_f16_e32 v53, v114, v160
	v_add_f16_sdwa v57, v57, v4 dst_sel:DWORD dst_unused:UNUSED_PAD src0_sel:DWORD src1_sel:WORD_1
	v_add_f16_e32 v58, v67, v138
	v_pk_add_f16 v5, v10, v5
	v_mul_f16_e32 v130, 0x3b15, v35
	v_mul_f16_e32 v120, 0x388b, v44
	v_add_f16_e32 v47, v56, v47
	v_sub_f16_e32 v56, v153, v105
	v_add_f16_e32 v43, v55, v43
	v_add_f16_e32 v52, v53, v52
	;; [unrolled: 1-line block ×4, first 2 shown]
	v_pk_add_f16 v5, v11, v5
	v_mul_f16_e32 v137, 0x388b, v37
	v_mul_f16_e32 v122, 0xb9fd, v45
	v_add_f16_e32 v47, v56, v47
	v_sub_f16_e32 v56, v120, v62
	v_add_f16_e32 v53, v55, v53
	v_add_f16_e32 v55, v77, v152
	v_sub_f16_e32 v12, v130, v12
	v_pk_add_f16 v5, v8, v5
	v_mul_f16_e32 v144, 0x2fb7, v41
	v_add_f16_e32 v10, v56, v47
	v_sub_f16_e32 v47, v122, v116
	v_add_f16_e32 v53, v55, v53
	v_add_f16_e32 v11, v63, v159
	;; [unrolled: 1-line block ×3, first 2 shown]
	v_sub_f16_e32 v12, v137, v14
	v_pk_add_f16 v5, v9, v5
	v_bfi_b32 v9, 0xffff, v108, v66
	v_mul_f16_e32 v151, 0xb5ac, v39
	v_add_f16_e32 v8, v47, v10
	v_add_f16_e32 v10, v11, v53
	;; [unrolled: 1-line block ×3, first 2 shown]
	v_sub_f16_e32 v11, v144, v15
	v_bfi_b32 v15, 0xffff, v109, v70
	v_pk_add_f16 v5, v6, v5
	v_pk_add_f16 v6, v9, v73
	v_sub_f16_e32 v9, v151, v60
	v_add_f16_e32 v4, v11, v4
	v_bfi_b32 v11, 0xffff, v107, v19
	v_pk_add_f16 v5, v7, v5
	v_pk_add_f16 v6, v15, v6
	v_mul_f16_e32 v158, 0xb9fd, v44
	v_add_f16_e32 v4, v9, v4
	v_bfi_b32 v9, 0xffff, v76, v17
	v_pk_add_f16 v2, v2, v5
	v_pk_add_f16 v5, v11, v6
	v_bfi_b32 v6, 0xffff, v110, v65
	v_mul_f16_e32 v163, 0xbbc4, v45
	v_mul_f16_e32 v164, 0x3b15, v129
	v_pk_add_f16 v2, v3, v2
	v_pk_add_f16 v3, v9, v5
	v_pk_mul_f16 v5, 0xb3a8, v34 op_sel_hi:[0,1]
	v_sub_f16_e32 v7, v158, v61
	v_bfi_b32 v9, 0xffff, v13, v16
	v_pk_add_f16 v0, v0, v2
	v_pk_add_f16 v2, v6, v3
	v_pk_fma_f16 v3, 0xbbc4, v35, v5 op_sel:[0,0,1] op_sel_hi:[0,1,0] neg_lo:[0,0,1] neg_hi:[0,0,1]
	v_pk_fma_f16 v5, 0xbbc4, v35, v5 op_sel:[0,0,1] op_sel_hi:[0,1,0]
	v_pk_mul_f16 v6, 0x3770, v36 op_sel_hi:[0,1]
	v_add_f16_e32 v12, v68, v164
	v_add_f16_e32 v4, v7, v4
	v_sub_f16_e32 v7, v163, v18
	v_pk_add_f16 v0, v1, v0
	v_pk_add_f16 v1, v9, v2
	v_bfi_b32 v2, 0xffff, v3, v5
	v_pk_fma_f16 v9, 0x3b15, v37, v6 op_sel:[0,0,1] op_sel_hi:[0,1,0] neg_lo:[0,0,1] neg_hi:[0,0,1]
	v_pk_fma_f16 v6, 0x3b15, v37, v6 op_sel:[0,0,1] op_sel_hi:[0,1,0]
	v_pk_mul_f16 v11, 0xb94e, v38 op_sel_hi:[0,1]
	v_add_f16_e32 v10, v12, v10
	v_add_f16_e32 v4, v7, v4
	v_pk_add_f16 v2, v2, v73 op_sel:[0,1] op_sel_hi:[1,0]
	v_bfi_b32 v12, 0xffff, v9, v6
	v_pk_fma_f16 v13, 0xb9fd, v41, v11 op_sel:[0,0,1] op_sel_hi:[0,1,0] neg_lo:[0,0,1] neg_hi:[0,0,1]
	v_pk_fma_f16 v11, 0xb9fd, v41, v11 op_sel:[0,0,1] op_sel_hi:[0,1,0]
	v_bfi_b32 v3, 0xffff, v5, v3
	v_alignbit_b32 v10, v10, v1, 16
	v_pack_b32_f16 v1, v4, v1
	v_pk_mul_f16 v4, 0x3a95, v40 op_sel_hi:[0,1]
	v_pk_add_f16 v2, v12, v2
	v_bfi_b32 v5, 0xffff, v13, v11
	v_pk_add_f16 v3, v3, v73 op_sel:[0,1] op_sel_hi:[1,0]
	v_bfi_b32 v6, 0xffff, v6, v9
	v_pk_fma_f16 v9, 0x388b, v39, v4 op_sel:[0,0,1] op_sel_hi:[0,1,0] neg_lo:[0,0,1] neg_hi:[0,0,1]
	v_pk_fma_f16 v4, 0x388b, v39, v4 op_sel:[0,0,1] op_sel_hi:[0,1,0]
	v_pk_mul_f16 v12, 0xbb7b, v42 op_sel_hi:[0,1]
	v_pk_add_f16 v2, v5, v2
	v_pk_add_f16 v3, v6, v3
	v_bfi_b32 v5, 0xffff, v11, v13
	v_mul_f16_e32 v125, 0xb9fd, v129
	v_bfi_b32 v6, 0xffff, v9, v4
	v_pk_fma_f16 v11, 0xb5ac, v44, v12 op_sel:[0,0,1] op_sel_hi:[0,1,0] neg_lo:[0,0,1] neg_hi:[0,0,1]
	v_pk_fma_f16 v12, 0xb5ac, v44, v12 op_sel:[0,0,1] op_sel_hi:[0,1,0]
	v_pk_mul_f16 v13, 0x3bf1, v46 op_sel_hi:[0,1]
	v_pk_add_f16 v3, v5, v3
	v_bfi_b32 v4, 0xffff, v4, v9
	v_add_f16_e32 v57, v71, v125
	v_lshlrev_b32_e32 v7, 2, v94
	v_pk_add_f16 v0, v33, v0
	v_pk_add_f16 v2, v6, v2
	v_bfi_b32 v5, 0xffff, v11, v12
	v_pk_fma_f16 v6, 0x2fb7, v45, v13 op_sel:[0,0,1] op_sel_hi:[0,1,0] neg_lo:[0,0,1] neg_hi:[0,0,1]
	v_pk_fma_f16 v9, 0x2fb7, v45, v13 op_sel:[0,0,1] op_sel_hi:[0,1,0]
	v_pk_add_f16 v3, v4, v3
	v_bfi_b32 v4, 0xffff, v12, v11
	v_add_f16_e32 v14, v57, v52
	ds_write_b32 v7, v0
	ds_write2_b32 v7, v1, v10 offset0:1 offset1:2
	v_pk_add_f16 v0, v5, v2
	v_bfi_b32 v1, 0xffff, v6, v9
	v_pk_add_f16 v2, v4, v3
	v_bfi_b32 v3, 0xffff, v9, v6
	v_pack_b32_f16 v4, v43, v48
	v_pack_b32_f16 v5, v8, v14
	v_pk_add_f16 v0, v1, v0
	v_pack_b32_f16 v1, v51, v54
	v_pk_add_f16 v2, v3, v2
	v_perm_b32 v3, v101, v29, 0x5040100
	v_perm_b32 v6, v99, v31, 0x5040100
	;; [unrolled: 1-line block ×5, first 2 shown]
	ds_write2_b32 v7, v5, v4 offset0:3 offset1:4
	ds_write2_b32 v7, v1, v0 offset0:5 offset1:6
	;; [unrolled: 1-line block ×5, first 2 shown]
.LBB0_7:
	s_or_b32 exec_lo, exec_lo, s0
	v_add_co_u32 v51, null, 0xb6, v91
	v_mov_b32_e32 v0, 0x4ec5
	v_and_b32_e32 v1, 0xff, v91
	s_waitcnt lgkmcnt(0)
	s_barrier
	buffer_gl0_inv
	v_mul_u32_u24_sdwa v0, v51, v0 dst_sel:DWORD dst_unused:UNUSED_PAD src0_sel:WORD_0 src1_sel:DWORD
	v_add_nc_u32_e32 v74, 0x200, v79
	v_add_nc_u32_e32 v69, 0x800, v79
	;; [unrolled: 1-line block ×4, first 2 shown]
	v_lshrrev_b32_e32 v52, 18, v0
	v_mul_lo_u16 v0, 0x4f, v1
	v_add_nc_u32_e32 v73, 0x1200, v79
	v_add_nc_u32_e32 v71, 0x1800, v79
	;; [unrolled: 1-line block ×3, first 2 shown]
	v_mul_lo_u16 v1, v52, 13
	v_lshrrev_b16 v56, 10, v0
	v_and_b32_e32 v0, 0xff, v50
	v_add_nc_u32_e32 v75, 0xc00, v79
	v_add_nc_u32_e32 v77, 0x1600, v79
	v_sub_nc_u16 v53, v51, v1
	v_mul_lo_u16 v1, v56, 13
	v_mul_lo_u16 v0, 0x4f, v0
	v_mov_b32_e32 v62, 0x5b
	v_mov_b32_e32 v61, 0x6817
	v_mul_lo_u16 v2, v53, 6
	v_sub_nc_u16 v1, v91, v1
	v_lshrrev_b16 v57, 10, v0
	v_mul_u32_u24_sdwa v56, v56, v62 dst_sel:DWORD dst_unused:UNUSED_PAD src0_sel:WORD_0 src1_sel:DWORD
	v_mad_u16 v52, 0x5b, v52, v53
	v_lshlrev_b32_sdwa v4, v49, v2 dst_sel:DWORD dst_unused:UNUSED_PAD src0_sel:DWORD src1_sel:WORD_0
	v_and_b32_e32 v58, 0xff, v1
	v_mul_lo_u16 v5, v57, 13
	v_mul_u32_u24_sdwa v57, v57, v62 dst_sel:DWORD dst_unused:UNUSED_PAD src0_sel:WORD_0 src1_sel:DWORD
	v_mul_u32_u24_sdwa v61, v51, v61 dst_sel:DWORD dst_unused:UNUSED_PAD src0_sel:WORD_0 src1_sel:DWORD
	s_clause 0x1
	global_load_dwordx4 v[0:3], v4, s[2:3]
	global_load_dwordx2 v[33:34], v4, s[2:3] offset:16
	v_sub_nc_u16 v5, v50, v5
	v_mul_u32_u24_e32 v6, 6, v58
	v_add_lshl_u32 v103, v56, v58, 2
	v_and_b32_e32 v59, 0xff, v5
	v_lshlrev_b32_e32 v6, 2, v6
	v_mul_u32_u24_e32 v4, 6, v59
	global_load_dwordx4 v[8:11], v6, s[2:3]
	v_add_lshl_u32 v102, v57, v59, 2
	v_lshlrev_b32_e32 v12, 2, v4
	s_clause 0x2
	global_load_dwordx2 v[37:38], v6, s[2:3] offset:16
	global_load_dwordx4 v[4:7], v12, s[2:3]
	global_load_dwordx2 v[35:36], v12, s[2:3] offset:16
	ds_read_b32 v60, v79 offset:7280
	ds_read2_b32 v[12:13], v74 offset0:54 offset1:145
	ds_read2_b32 v[18:19], v69 offset0:34 offset1:125
	;; [unrolled: 1-line block ×9, first 2 shown]
	ds_read2_b32 v[54:55], v79 offset1:91
	s_waitcnt vmcnt(0) lgkmcnt(0)
	s_barrier
	buffer_gl0_inv
	v_lshrrev_b32_e32 v62, 16, v60
	v_lshrrev_b32_e32 v63, 16, v13
	;; [unrolled: 1-line block ×18, first 2 shown]
	v_mul_f16_sdwa v53, v109, v0 dst_sel:DWORD dst_unused:UNUSED_PAD src0_sel:DWORD src1_sel:WORD_1
	v_mul_f16_sdwa v56, v44, v0 dst_sel:DWORD dst_unused:UNUSED_PAD src0_sel:DWORD src1_sel:WORD_1
	;; [unrolled: 1-line block ×12, first 2 shown]
	v_fma_f16 v44, v44, v0, -v53
	v_mul_f16_sdwa v121, v63, v8 dst_sel:DWORD dst_unused:UNUSED_PAD src0_sel:DWORD src1_sel:WORD_1
	v_mul_f16_sdwa v122, v13, v8 dst_sel:DWORD dst_unused:UNUSED_PAD src0_sel:DWORD src1_sel:WORD_1
	;; [unrolled: 1-line block ×24, first 2 shown]
	v_fmac_f16_e32 v56, v109, v0
	v_fma_f16 v47, v47, v1, -v57
	v_fmac_f16_e32 v58, v110, v1
	v_fma_f16 v42, v42, v2, -v59
	;; [unrolled: 2-line block ×17, first 2 shown]
	v_fmac_f16_e32 v140, v106, v7
	v_add_f16_e32 v57, v44, v53
	v_add_f16_e32 v59, v56, v120
	v_sub_f16_e32 v44, v44, v53
	v_sub_f16_e32 v53, v56, v120
	v_add_f16_e32 v56, v47, v40
	v_add_f16_e32 v60, v58, v118
	v_sub_f16_e32 v40, v47, v40
	v_sub_f16_e32 v47, v58, v118
	;; [unrolled: 4-line block ×3, first 2 shown]
	v_add_f16_e32 v63, v13, v14
	v_add_f16_e32 v64, v122, v132
	;; [unrolled: 1-line block ×4, first 2 shown]
	v_sub_f16_e32 v13, v13, v14
	v_sub_f16_e32 v14, v122, v132
	;; [unrolled: 1-line block ×4, first 2 shown]
	v_add_f16_e32 v67, v48, v16
	v_add_f16_e32 v76, v126, v128
	v_sub_f16_e32 v16, v16, v48
	v_sub_f16_e32 v48, v128, v126
	v_add_f16_e32 v78, v43, v15
	v_add_f16_e32 v104, v134, v144
	;; [unrolled: 1-line block ×4, first 2 shown]
	v_sub_f16_e32 v15, v43, v15
	v_sub_f16_e32 v43, v134, v144
	;; [unrolled: 1-line block ×4, first 2 shown]
	v_add_f16_e32 v107, v41, v17
	v_sub_f16_e32 v17, v17, v41
	v_sub_f16_e32 v41, v140, v138
	v_add_f16_e32 v109, v56, v57
	v_add_f16_e32 v110, v60, v59
	v_sub_f16_e32 v111, v56, v57
	v_sub_f16_e32 v112, v60, v59
	;; [unrolled: 1-line block ×6, first 2 shown]
	v_add_f16_e32 v113, v42, v40
	v_add_f16_e32 v114, v45, v47
	v_sub_f16_e32 v115, v42, v40
	v_sub_f16_e32 v116, v45, v47
	;; [unrolled: 1-line block ×4, first 2 shown]
	v_add_f16_e32 v117, v65, v63
	v_add_f16_e32 v118, v66, v64
	;; [unrolled: 1-line block ×3, first 2 shown]
	v_sub_f16_e32 v119, v65, v63
	v_sub_f16_e32 v120, v66, v64
	v_sub_f16_e32 v65, v67, v65
	v_sub_f16_e32 v66, v76, v66
	v_add_f16_e32 v121, v16, v18
	v_add_f16_e32 v122, v48, v46
	v_sub_f16_e32 v123, v16, v18
	v_sub_f16_e32 v124, v48, v46
	v_sub_f16_e32 v18, v18, v13
	v_sub_f16_e32 v46, v46, v14
	v_add_f16_e32 v125, v105, v78
	v_add_f16_e32 v126, v106, v104
	;; [unrolled: 6-line block ×4, first 2 shown]
	v_add_f16_e32 v44, v113, v44
	v_add_f16_e32 v53, v114, v53
	v_mul_f16_e32 v57, 0x3a52, v57
	v_mul_f16_e32 v59, 0x3a52, v59
	;; [unrolled: 1-line block ×8, first 2 shown]
	v_add_f16_e32 v67, v67, v117
	v_add_f16_e32 v76, v76, v118
	v_sub_f16_e32 v16, v13, v16
	v_sub_f16_e32 v48, v14, v48
	;; [unrolled: 1-line block ×8, first 2 shown]
	v_add_f16_e32 v13, v121, v13
	v_add_f16_e32 v14, v122, v14
	v_mul_f16_e32 v117, 0x2b26, v65
	v_mul_f16_e32 v118, 0x2b26, v66
	;; [unrolled: 1-line block ×6, first 2 shown]
	v_add_f16_e32 v107, v107, v125
	v_add_f16_e32 v108, v108, v126
	v_sub_f16_e32 v17, v15, v17
	v_sub_f16_e32 v41, v43, v41
	v_mul_f16_e32 v63, 0x3a52, v63
	v_mul_f16_e32 v64, 0x3a52, v64
	v_add_f16_e32 v15, v129, v15
	v_add_f16_e32 v43, v130, v43
	v_mul_f16_e32 v129, 0xb846, v131
	v_mul_f16_e32 v130, 0xb846, v132
	;; [unrolled: 1-line block ×4, first 2 shown]
	v_add_f16_e32 v133, v12, v58
	v_add_f16_sdwa v12, v12, v62 dst_sel:DWORD dst_unused:UNUSED_PAD src0_sel:WORD_1 src1_sel:DWORD
	v_fmamk_f16 v56, v56, 0x2b26, v57
	v_fmamk_f16 v60, v60, 0x2b26, v59
	v_fma_f16 v109, v111, 0x39e0, -v109
	v_fma_f16 v110, v112, 0x39e0, -v110
	;; [unrolled: 1-line block ×4, first 2 shown]
	v_fmamk_f16 v111, v42, 0x3574, v113
	v_fmamk_f16 v112, v45, 0x3574, v114
	v_fma_f16 v40, v40, 0x3b00, -v113
	v_fma_f16 v47, v47, 0x3b00, -v114
	;; [unrolled: 1-line block ×4, first 2 shown]
	v_add_f16_e32 v113, v54, v67
	v_add_f16_sdwa v54, v54, v76 dst_sel:DWORD dst_unused:UNUSED_PAD src0_sel:WORD_1 src1_sel:DWORD
	v_mul_f16_e32 v78, 0x3a52, v78
	v_mul_f16_e32 v104, 0x3a52, v104
	v_fma_f16 v114, v119, 0x39e0, -v117
	v_fma_f16 v115, v120, 0x39e0, -v118
	v_fmamk_f16 v116, v16, 0x3574, v121
	v_fmamk_f16 v117, v48, 0x3574, v122
	v_fma_f16 v18, v18, 0x3b00, -v121
	v_fma_f16 v46, v46, 0x3b00, -v122
	;; [unrolled: 1-line block ×4, first 2 shown]
	v_add_f16_e32 v118, v55, v107
	v_add_f16_sdwa v55, v55, v108 dst_sel:DWORD dst_unused:UNUSED_PAD src0_sel:WORD_1 src1_sel:DWORD
	v_fmamk_f16 v65, v65, 0x2b26, v63
	v_fmamk_f16 v66, v66, 0x2b26, v64
	;; [unrolled: 1-line block ×4, first 2 shown]
	v_fma_f16 v19, v19, 0x3b00, -v129
	v_fma_f16 v39, v39, 0x3b00, -v130
	;; [unrolled: 1-line block ×4, first 2 shown]
	v_fmamk_f16 v58, v58, 0xbcab, v133
	v_fmamk_f16 v62, v62, 0xbcab, v12
	v_fmac_f16_e32 v111, 0x370e, v44
	v_fmac_f16_e32 v112, 0x370e, v53
	;; [unrolled: 1-line block ×6, first 2 shown]
	v_fmamk_f16 v44, v67, 0xbcab, v113
	v_fmamk_f16 v53, v76, 0xbcab, v54
	v_mul_f16_e32 v126, 0x2b26, v106
	v_fma_f16 v63, v119, 0xb9e0, -v63
	v_fma_f16 v64, v120, 0xb9e0, -v64
	v_mul_f16_e32 v125, 0x2b26, v105
	v_fmamk_f16 v105, v105, 0x2b26, v78
	v_fmamk_f16 v106, v106, 0x2b26, v104
	v_fmac_f16_e32 v116, 0x370e, v13
	v_fmac_f16_e32 v117, 0x370e, v14
	;; [unrolled: 1-line block ×6, first 2 shown]
	v_fmamk_f16 v13, v107, 0xbcab, v118
	v_fmamk_f16 v14, v108, 0xbcab, v55
	v_fmac_f16_e32 v121, 0x370e, v15
	v_fmac_f16_e32 v122, 0x370e, v43
	;; [unrolled: 1-line block ×6, first 2 shown]
	v_add_f16_e32 v15, v56, v58
	v_add_f16_e32 v43, v60, v62
	;; [unrolled: 1-line block ×8, first 2 shown]
	v_fma_f16 v120, v128, 0x39e0, -v126
	v_fma_f16 v104, v128, 0xb9e0, -v104
	v_add_f16_e32 v65, v114, v44
	v_add_f16_e32 v66, v115, v53
	;; [unrolled: 1-line block ×6, first 2 shown]
	v_fma_f16 v119, v127, 0x39e0, -v125
	v_fma_f16 v78, v127, 0xb9e0, -v78
	v_add_f16_e32 v106, v45, v57
	v_sub_f16_e32 v108, v56, v47
	v_add_f16_e32 v47, v47, v56
	v_sub_f16_e32 v45, v57, v45
	;; [unrolled: 2-line block ×3, first 2 shown]
	v_add_f16_e32 v76, v120, v14
	v_add_f16_e32 v14, v104, v14
	v_sub_f16_e32 v107, v58, v42
	v_add_f16_e32 v109, v40, v60
	v_sub_f16_e32 v40, v60, v40
	v_add_f16_e32 v42, v42, v58
	v_add_f16_e32 v58, v48, v44
	v_sub_f16_e32 v60, v53, v16
	v_sub_f16_e32 v104, v65, v46
	v_add_f16_e32 v110, v18, v66
	v_add_f16_e32 v46, v46, v65
	v_sub_f16_e32 v18, v66, v18
	v_sub_f16_e32 v44, v44, v48
	v_add_f16_e32 v16, v16, v53
	v_sub_f16_e32 v48, v59, v117
	v_add_f16_e32 v53, v116, v62
	v_add_f16_e32 v59, v122, v63
	v_sub_f16_e32 v62, v64, v121
	v_pack_b32_f16 v54, v113, v54
	v_add_f16_e32 v67, v119, v13
	v_add_f16_e32 v13, v78, v13
	v_pack_b32_f16 v56, v56, v57
	v_pack_b32_f16 v57, v58, v60
	;; [unrolled: 1-line block ×8, first 2 shown]
	v_add_f16_e32 v78, v112, v15
	v_sub_f16_e32 v105, v43, v111
	v_sub_f16_e32 v15, v15, v112
	v_add_f16_e32 v43, v111, v43
	v_add_f16_e32 v65, v41, v13
	v_sub_f16_e32 v66, v14, v17
	v_sub_f16_e32 v111, v67, v39
	v_add_f16_e32 v112, v19, v76
	v_sub_f16_e32 v13, v13, v41
	v_add_f16_e32 v14, v17, v14
	;; [unrolled: 2-line block ×3, first 2 shown]
	ds_write2_b32 v103, v54, v56 offset1:13
	ds_write2_b32 v103, v57, v58 offset0:26 offset1:39
	ds_write2_b32 v103, v18, v16 offset0:52 offset1:65
	ds_write_b32 v103, v44 offset:312
	ds_write2_b32 v102, v55, v46 offset1:13
	v_lshrrev_b32_e32 v18, 16, v61
	v_add_f16_e32 v39, v39, v67
	v_sub_f16_e32 v19, v76, v19
	v_pack_b32_f16 v48, v65, v66
	v_pack_b32_f16 v53, v111, v112
	;; [unrolled: 1-line block ×4, first 2 shown]
	v_sub_nc_u16 v17, v51, v18
	v_pack_b32_f16 v16, v39, v19
	ds_write2_b32 v102, v48, v53 offset0:26 offset1:39
	ds_write2_b32 v102, v16, v13 offset0:52 offset1:65
	ds_write_b32 v102, v14 offset:312
	v_lshrrev_b16 v13, 1, v17
	v_lshlrev_b32_sdwa v104, v49, v52 dst_sel:DWORD dst_unused:UNUSED_PAD src0_sel:DWORD src1_sel:WORD_0
	v_pack_b32_f16 v12, v133, v12
	v_pack_b32_f16 v19, v78, v105
	;; [unrolled: 1-line block ×3, first 2 shown]
	v_add_nc_u16 v18, v13, v18
	v_pack_b32_f16 v16, v108, v109
	v_pack_b32_f16 v17, v47, v40
	ds_write2_b32 v104, v12, v19 offset1:13
	v_pack_b32_f16 v19, v45, v42
	v_lshrrev_b16 v18, 6, v18
	v_pack_b32_f16 v15, v15, v43
	ds_write2_b32 v104, v14, v16 offset0:26 offset1:39
	ds_write2_b32 v104, v17, v19 offset0:52 offset1:65
	ds_write_b32 v104, v15 offset:312
	v_mul_lo_u16 v14, 0x5b, v18
	v_mad_u64_u32 v[12:13], null, v91, 24, s[2:3]
	s_waitcnt lgkmcnt(0)
	s_barrier
	v_sub_nc_u16 v43, v51, v14
	buffer_gl0_inv
	v_lshlrev_b32_e32 v45, 3, v91
	s_clause 0x1
	global_load_dwordx4 v[16:19], v[12:13], off offset:312
	global_load_dwordx2 v[41:42], v[12:13], off offset:328
	v_mul_lo_u16 v14, v43, 24
	v_and_b32_e32 v12, 0xffff, v14
	v_add_co_u32 v39, s0, s2, v12
	v_add_co_ci_u32_e64 v40, null, s3, 0, s0
	s_clause 0x1
	global_load_dwordx4 v[12:15], v[39:40], off offset:312
	global_load_dwordx2 v[39:40], v[39:40], off offset:328
	ds_read2_b32 v[46:47], v74 offset0:54 offset1:145
	ds_read2_b32 v[52:53], v69 offset0:34 offset1:125
	;; [unrolled: 1-line block ×9, first 2 shown]
	ds_read_b32 v44, v79 offset:7280
	ds_read2_b32 v[105:106], v79 offset1:91
	s_waitcnt vmcnt(0) lgkmcnt(0)
	s_barrier
	buffer_gl0_inv
	v_lshrrev_b32_e32 v48, 16, v47
	v_lshrrev_b32_e32 v76, 16, v52
	;; [unrolled: 1-line block ×18, first 2 shown]
	v_mul_f16_sdwa v122, v48, v16 dst_sel:DWORD dst_unused:UNUSED_PAD src0_sel:DWORD src1_sel:WORD_1
	v_mul_f16_sdwa v123, v47, v16 dst_sel:DWORD dst_unused:UNUSED_PAD src0_sel:DWORD src1_sel:WORD_1
	;; [unrolled: 1-line block ×32, first 2 shown]
	v_fma_f16 v47, v47, v16, -v122
	v_fmac_f16_e32 v123, v48, v16
	v_fma_f16 v48, v52, v17, -v124
	v_fmac_f16_e32 v125, v76, v17
	;; [unrolled: 2-line block ×8, first 2 shown]
	v_fma_f16 v62, v64, v18, -v138
	v_fma_f16 v64, v66, v41, -v142
	v_fmac_f16_e32 v143, v114, v41
	v_fma_f16 v61, v61, v42, -v144
	v_fmac_f16_e32 v145, v115, v42
	v_mul_f16_sdwa v150, v118, v14 dst_sel:DWORD dst_unused:UNUSED_PAD src0_sel:DWORD src1_sel:WORD_1
	v_mul_f16_sdwa v151, v65, v14 dst_sel:DWORD dst_unused:UNUSED_PAD src0_sel:DWORD src1_sel:WORD_1
	;; [unrolled: 1-line block ×4, first 2 shown]
	v_fmac_f16_e32 v139, v112, v18
	v_fma_f16 v57, v57, v19, -v140
	v_fmac_f16_e32 v141, v113, v19
	v_fma_f16 v63, v63, v12, -v146
	;; [unrolled: 2-line block ×5, first 2 shown]
	v_fmac_f16_e32 v157, v121, v40
	v_add_f16_e32 v67, v47, v59
	v_add_f16_e32 v76, v123, v133
	v_sub_f16_e32 v47, v47, v59
	v_sub_f16_e32 v59, v123, v133
	v_add_f16_e32 v78, v48, v56
	v_add_f16_e32 v107, v125, v131
	v_sub_f16_e32 v48, v48, v56
	v_sub_f16_e32 v56, v125, v131
	;; [unrolled: 4-line block ×3, first 2 shown]
	v_add_f16_e32 v110, v60, v61
	v_add_f16_e32 v111, v135, v145
	;; [unrolled: 1-line block ×4, first 2 shown]
	v_fma_f16 v65, v65, v14, -v150
	v_fmac_f16_e32 v151, v118, v14
	v_fma_f16 v58, v58, v15, -v152
	v_fmac_f16_e32 v153, v119, v15
	v_sub_f16_e32 v60, v60, v61
	v_sub_f16_e32 v61, v135, v145
	;; [unrolled: 1-line block ×4, first 2 shown]
	v_add_f16_e32 v114, v62, v57
	v_add_f16_e32 v115, v139, v141
	v_sub_f16_e32 v57, v57, v62
	v_sub_f16_e32 v62, v141, v139
	v_add_f16_e32 v116, v63, v44
	v_add_f16_e32 v117, v147, v157
	;; [unrolled: 1-line block ×6, first 2 shown]
	v_sub_f16_e32 v124, v78, v67
	v_sub_f16_e32 v125, v107, v76
	;; [unrolled: 1-line block ×6, first 2 shown]
	v_add_f16_e32 v126, v52, v48
	v_add_f16_e32 v127, v55, v56
	v_sub_f16_e32 v128, v52, v48
	v_sub_f16_e32 v129, v55, v56
	v_sub_f16_e32 v48, v48, v47
	v_sub_f16_e32 v56, v56, v59
	v_add_f16_e32 v130, v112, v110
	v_add_f16_e32 v131, v113, v111
	v_sub_f16_e32 v44, v63, v44
	v_sub_f16_e32 v63, v147, v157
	v_sub_f16_e32 v54, v54, v66
	v_sub_f16_e32 v66, v149, v155
	;; [unrolled: 6-line block ×3, first 2 shown]
	v_sub_f16_e32 v132, v112, v110
	v_sub_f16_e32 v133, v113, v111
	;; [unrolled: 1-line block ×6, first 2 shown]
	v_add_f16_e32 v134, v57, v53
	v_add_f16_e32 v135, v62, v64
	v_sub_f16_e32 v136, v57, v53
	v_sub_f16_e32 v137, v62, v64
	v_sub_f16_e32 v53, v53, v60
	v_sub_f16_e32 v64, v64, v61
	v_add_f16_e32 v138, v118, v116
	v_add_f16_e32 v139, v119, v117
	;; [unrolled: 1-line block ×6, first 2 shown]
	v_mul_f16_e32 v67, 0x3a52, v67
	v_mul_f16_e32 v76, 0x3a52, v76
	;; [unrolled: 1-line block ×8, first 2 shown]
	v_add_f16_e32 v114, v114, v130
	v_add_f16_e32 v115, v115, v131
	v_sub_f16_e32 v57, v60, v57
	v_sub_f16_e32 v62, v61, v62
	;; [unrolled: 1-line block ×8, first 2 shown]
	v_add_f16_e32 v143, v65, v66
	v_sub_f16_e32 v145, v65, v66
	v_sub_f16_e32 v66, v66, v63
	v_add_f16_e32 v60, v134, v60
	v_add_f16_e32 v61, v135, v61
	v_mul_f16_e32 v110, 0x3a52, v110
	v_mul_f16_e32 v111, 0x3a52, v111
	;; [unrolled: 1-line block ×8, first 2 shown]
	v_add_f16_e32 v120, v120, v138
	v_add_f16_e32 v121, v121, v139
	;; [unrolled: 1-line block ×3, first 2 shown]
	v_add_f16_sdwa v105, v105, v109 dst_sel:DWORD dst_unused:UNUSED_PAD src0_sel:WORD_1 src1_sel:DWORD
	v_fmamk_f16 v78, v78, 0x2b26, v67
	v_fmamk_f16 v107, v107, 0x2b26, v76
	v_fma_f16 v122, v124, 0x39e0, -v122
	v_fma_f16 v123, v125, 0x39e0, -v123
	;; [unrolled: 1-line block ×4, first 2 shown]
	v_fmamk_f16 v124, v52, 0x3574, v126
	v_fmamk_f16 v125, v55, 0x3574, v127
	v_fma_f16 v48, v48, 0x3b00, -v126
	v_fma_f16 v56, v56, 0x3b00, -v127
	;; [unrolled: 1-line block ×4, first 2 shown]
	v_add_f16_e32 v126, v106, v114
	v_add_f16_sdwa v106, v106, v115 dst_sel:DWORD dst_unused:UNUSED_PAD src0_sel:WORD_1 src1_sel:DWORD
	v_sub_f16_e32 v65, v63, v65
	v_add_f16_e32 v63, v143, v63
	v_mul_f16_e32 v116, 0x3a52, v116
	v_mul_f16_e32 v117, 0x3a52, v117
	;; [unrolled: 1-line block ×5, first 2 shown]
	v_fmamk_f16 v112, v112, 0x2b26, v110
	v_fmamk_f16 v113, v113, 0x2b26, v111
	v_fma_f16 v127, v132, 0x39e0, -v130
	v_fma_f16 v128, v133, 0x39e0, -v131
	;; [unrolled: 1-line block ×3, first 2 shown]
	v_fmamk_f16 v129, v57, 0x3574, v134
	v_fmamk_f16 v130, v62, 0x3574, v135
	v_fma_f16 v53, v53, 0x3b00, -v134
	v_fma_f16 v64, v64, 0x3b00, -v135
	;; [unrolled: 1-line block ×4, first 2 shown]
	v_add_f16_e32 v131, v46, v120
	v_add_f16_sdwa v46, v46, v121 dst_sel:DWORD dst_unused:UNUSED_PAD src0_sel:WORD_1 src1_sel:DWORD
	v_fmamk_f16 v108, v108, 0xbcab, v146
	v_fmamk_f16 v109, v109, 0xbcab, v105
	v_fmac_f16_e32 v124, 0x370e, v47
	v_fmac_f16_e32 v125, 0x370e, v59
	;; [unrolled: 1-line block ×6, first 2 shown]
	v_fmamk_f16 v47, v114, 0xbcab, v126
	v_fmamk_f16 v59, v115, 0xbcab, v106
	v_add_f16_e32 v142, v58, v54
	v_sub_f16_e32 v144, v58, v54
	v_mul_f16_e32 v139, 0x2b26, v119
	v_fma_f16 v110, v132, 0xb9e0, -v110
	v_fmamk_f16 v118, v118, 0x2b26, v116
	v_fmamk_f16 v119, v119, 0x2b26, v117
	v_fma_f16 v132, v140, 0x39e0, -v138
	v_fma_f16 v116, v140, 0xb9e0, -v116
	v_fmamk_f16 v135, v65, 0x3574, v143
	v_fma_f16 v65, v65, 0xb574, -v145
	v_fmac_f16_e32 v129, 0x370e, v60
	v_fmac_f16_e32 v130, 0x370e, v61
	;; [unrolled: 1-line block ×6, first 2 shown]
	v_fmamk_f16 v60, v120, 0xbcab, v131
	v_fmamk_f16 v61, v121, 0xbcab, v46
	v_add_f16_e32 v78, v78, v108
	v_add_f16_e32 v107, v107, v109
	v_add_f16_e32 v114, v122, v108
	v_add_f16_e32 v115, v123, v109
	v_add_f16_e32 v67, v67, v108
	v_add_f16_e32 v76, v76, v109
	v_add_f16_e32 v108, v112, v47
	v_add_f16_e32 v109, v113, v59
	v_add_f16_e32 v113, v128, v59
	v_add_f16_e32 v59, v111, v59
	v_sub_f16_e32 v54, v54, v44
	v_sub_f16_e32 v58, v44, v58
	v_add_f16_e32 v44, v142, v44
	v_mul_f16_e32 v142, 0xb846, v144
	v_add_f16_e32 v112, v127, v47
	v_add_f16_e32 v47, v110, v47
	;; [unrolled: 1-line block ×5, first 2 shown]
	v_sub_f16_e32 v119, v107, v124
	v_add_f16_e32 v120, v55, v67
	v_add_f16_e32 v123, v48, v115
	v_sub_f16_e32 v48, v115, v48
	v_sub_f16_e32 v55, v67, v55
	;; [unrolled: 1-line block ×3, first 2 shown]
	v_add_f16_e32 v78, v130, v108
	v_sub_f16_e32 v115, v59, v57
	v_add_f16_e32 v57, v57, v59
	v_sub_f16_e32 v59, v108, v130
	v_add_f16_e32 v108, v132, v60
	v_add_f16_e32 v60, v116, v60
	v_fmac_f16_e32 v65, 0x370e, v63
	v_mul_f16_e32 v144, 0x3b00, v54
	v_fmamk_f16 v134, v58, 0x3574, v142
	v_sub_f16_e32 v121, v76, v52
	v_sub_f16_e32 v122, v114, v56
	v_add_f16_e32 v52, v52, v76
	v_add_f16_e32 v76, v124, v107
	v_sub_f16_e32 v124, v112, v64
	v_add_f16_e32 v64, v64, v112
	v_add_f16_e32 v112, v65, v60
	v_sub_f16_e32 v60, v60, v65
	v_pack_b32_f16 v65, v146, v105
	v_pack_b32_f16 v105, v118, v119
	v_fma_f16 v133, v141, 0x39e0, -v139
	v_fma_f16 v117, v141, 0xb9e0, -v117
	;; [unrolled: 1-line block ×5, first 2 shown]
	v_add_f16_e32 v56, v56, v114
	v_sub_f16_e32 v107, v109, v129
	v_add_f16_e32 v114, v62, v47
	v_add_f16_e32 v125, v53, v113
	v_sub_f16_e32 v53, v113, v53
	v_fmac_f16_e32 v134, 0x370e, v44
	v_fmac_f16_e32 v135, 0x370e, v63
	ds_write2_b32 v79, v65, v105 offset1:91
	v_pack_b32_f16 v65, v120, v121
	v_pack_b32_f16 v105, v122, v123
	v_sub_f16_e32 v47, v47, v62
	v_add_f16_e32 v62, v129, v109
	v_add_f16_e32 v109, v133, v61
	;; [unrolled: 1-line block ×3, first 2 shown]
	v_fmac_f16_e32 v54, 0x370e, v44
	v_fmac_f16_e32 v58, 0x370e, v44
	;; [unrolled: 1-line block ×3, first 2 shown]
	v_pack_b32_f16 v48, v56, v48
	v_pack_b32_f16 v52, v55, v52
	v_pack_b32_f16 v55, v67, v76
	v_pack_b32_f16 v56, v126, v106
	v_pack_b32_f16 v67, v78, v107
	v_pack_b32_f16 v76, v114, v115
	v_pack_b32_f16 v78, v124, v125
	v_pack_b32_f16 v53, v64, v53
	v_add_f16_e32 v44, v135, v110
	v_sub_f16_e32 v63, v111, v134
	ds_write2_b32 v74, v65, v105 offset0:54 offset1:145
	ds_write2_b32 v70, v48, v52 offset0:108 offset1:199
	;; [unrolled: 1-line block ×5, first 2 shown]
	v_lshlrev_b32_sdwa v105, v49, v43 dst_sel:DWORD dst_unused:UNUSED_PAD src0_sel:DWORD src1_sel:WORD_0
	v_sub_f16_e32 v113, v61, v58
	v_sub_f16_e32 v116, v108, v66
	v_add_f16_e32 v117, v54, v109
	v_add_f16_e32 v66, v66, v108
	v_sub_f16_e32 v54, v109, v54
	v_add_f16_e32 v58, v58, v61
	v_sub_f16_e32 v61, v110, v135
	v_add_f16_e32 v108, v134, v111
	v_pack_b32_f16 v43, v47, v57
	v_pack_b32_f16 v47, v59, v62
	;; [unrolled: 1-line block ×4, first 2 shown]
	v_add_nc_u32_e32 v48, 0x1200, v105
	v_pack_b32_f16 v49, v112, v113
	v_pack_b32_f16 v52, v116, v117
	v_add_nc_u32_e32 v53, 0x1600, v105
	v_pack_b32_f16 v54, v66, v54
	v_pack_b32_f16 v55, v60, v58
	v_add_nc_u32_e32 v56, 0x1800, v105
	v_pack_b32_f16 v57, v61, v108
	ds_write2_b32 v72, v43, v47 offset0:68 offset1:159
	ds_write2_b32 v48, v46, v44 offset0:122 offset1:213
	;; [unrolled: 1-line block ×4, first 2 shown]
	ds_write_b32 v105, v57 offset:7280
	v_add_co_u32 v43, s0, s2, v45
	v_add_co_ci_u32_e64 v44, null, s3, 0, s0
	v_lshlrev_b32_e32 v46, 3, v50
	v_add_co_u32 v43, s0, 0x800, v43
	v_add_co_ci_u32_e64 v44, s0, 0, v44, s0
	v_add_co_u32 v46, s0, s2, v46
	v_add_co_ci_u32_e64 v47, null, s3, 0, s0
	v_lshlrev_b32_e32 v48, 3, v51
	v_add_co_u32 v46, s0, 0x800, v46
	v_add_co_ci_u32_e64 v47, s0, 0, v47, s0
	v_add_co_u32 v48, s0, s2, v48
	v_add_co_ci_u32_e64 v49, null, s3, 0, s0
	v_add_nc_u32_e32 v50, 0x888, v45
	v_add_co_u32 v48, s0, 0x800, v48
	v_add_nc_u32_e32 v51, 0xb60, v45
	v_add_co_ci_u32_e64 v49, s0, 0, v49, s0
	v_add_co_u32 v50, s0, s2, v50
	v_add_co_ci_u32_e64 v52, null, s3, 0, s0
	v_add_co_u32 v51, s0, s2, v51
	v_add_co_ci_u32_e64 v53, null, s3, 0, s0
	v_add_co_u32 v57, s0, 0x800, v50
	v_add_nc_u32_e32 v50, 0xe38, v45
	v_add_co_ci_u32_e64 v58, s0, 0, v52, s0
	v_add_co_u32 v59, s0, 0x800, v51
	v_add_nc_u32_e32 v45, 0x1110, v45
	v_add_co_ci_u32_e64 v60, s0, 0, v53, s0
	s_waitcnt lgkmcnt(0)
	s_barrier
	buffer_gl0_inv
	s_clause 0x4
	global_load_dwordx2 v[55:56], v[43:44], off offset:448
	global_load_dwordx2 v[53:54], v[46:47], off offset:448
	;; [unrolled: 1-line block ×5, first 2 shown]
	v_add_co_u32 v46, s0, s2, v50
	v_add_co_ci_u32_e64 v49, null, s3, 0, s0
	v_add_co_u32 v50, s0, s2, v45
	v_add_co_ci_u32_e64 v58, null, s3, 0, s0
	v_add_co_u32 v45, s0, 0x800, v46
	v_add_co_ci_u32_e64 v46, s0, 0, v49, s0
	v_add_co_u32 v57, s0, 0x800, v50
	v_add_co_ci_u32_e64 v58, s0, 0, v58, s0
	s_clause 0x1
	global_load_dwordx2 v[49:50], v[45:46], off offset:448
	global_load_dwordx2 v[45:46], v[57:58], off offset:448
	ds_read2_b32 v[113:114], v79 offset1:91
	ds_read2_b32 v[59:60], v69 offset0:34 offset1:125
	ds_read2_b32 v[57:58], v73 offset0:122 offset1:213
	;; [unrolled: 1-line block ×9, first 2 shown]
	ds_read_b32 v65, v79 offset:7280
	v_add_co_u32 v66, s0, 0x1ddc, v26
	v_add_co_ci_u32_e64 v67, s0, 0, v27, s0
	v_add_nc_u32_e32 v76, 0x1400, v79
	v_add_nc_u32_e32 v78, 0x1a00, v79
	s_waitcnt lgkmcnt(10)
	v_lshrrev_b32_e32 v123, 16, v113
	s_waitcnt lgkmcnt(9)
	v_lshrrev_b32_e32 v106, 16, v60
	s_waitcnt lgkmcnt(8)
	v_lshrrev_b32_e32 v112, 16, v57
	s_waitcnt lgkmcnt(7)
	v_lshrrev_b32_e32 v125, 16, v63
	v_lshrrev_b32_e32 v126, 16, v58
	v_lshrrev_b32_e32 v128, 16, v64
	s_waitcnt lgkmcnt(5)
	v_lshrrev_b32_e32 v129, 16, v110
	s_waitcnt lgkmcnt(4)
	v_lshrrev_b32_e32 v131, 16, v117
	v_lshrrev_b32_e32 v132, 16, v111
	;; [unrolled: 1-line block ×3, first 2 shown]
	s_waitcnt lgkmcnt(2)
	v_lshrrev_b32_e32 v134, 16, v119
	s_waitcnt lgkmcnt(1)
	v_lshrrev_b32_e32 v135, 16, v121
	v_lshrrev_b32_e32 v136, 16, v120
	;; [unrolled: 1-line block ×3, first 2 shown]
	s_waitcnt lgkmcnt(0)
	v_lshrrev_b32_e32 v138, 16, v65
	v_lshrrev_b32_e32 v124, 16, v114
	;; [unrolled: 1-line block ×7, first 2 shown]
	s_waitcnt vmcnt(6)
	v_mul_f16_sdwa v139, v106, v55 dst_sel:DWORD dst_unused:UNUSED_PAD src0_sel:DWORD src1_sel:WORD_1
	v_mul_f16_sdwa v140, v60, v55 dst_sel:DWORD dst_unused:UNUSED_PAD src0_sel:DWORD src1_sel:WORD_1
	v_mul_f16_sdwa v141, v112, v56 dst_sel:DWORD dst_unused:UNUSED_PAD src0_sel:DWORD src1_sel:WORD_1
	v_mul_f16_sdwa v142, v57, v56 dst_sel:DWORD dst_unused:UNUSED_PAD src0_sel:DWORD src1_sel:WORD_1
	s_waitcnt vmcnt(5)
	v_mul_f16_sdwa v143, v125, v53 dst_sel:DWORD dst_unused:UNUSED_PAD src0_sel:DWORD src1_sel:WORD_1
	v_mul_f16_sdwa v144, v63, v53 dst_sel:DWORD dst_unused:UNUSED_PAD src0_sel:DWORD src1_sel:WORD_1
	v_mul_f16_sdwa v145, v126, v54 dst_sel:DWORD dst_unused:UNUSED_PAD src0_sel:DWORD src1_sel:WORD_1
	v_mul_f16_sdwa v146, v58, v54 dst_sel:DWORD dst_unused:UNUSED_PAD src0_sel:DWORD src1_sel:WORD_1
	;; [unrolled: 5-line block ×5, first 2 shown]
	v_fma_f16 v60, v60, v55, -v139
	v_fmac_f16_e32 v140, v106, v55
	s_waitcnt vmcnt(1)
	v_mul_f16_sdwa v159, v135, v49 dst_sel:DWORD dst_unused:UNUSED_PAD src0_sel:DWORD src1_sel:WORD_1
	v_mul_f16_sdwa v160, v121, v49 dst_sel:DWORD dst_unused:UNUSED_PAD src0_sel:DWORD src1_sel:WORD_1
	;; [unrolled: 1-line block ×4, first 2 shown]
	s_waitcnt vmcnt(0)
	v_mul_f16_sdwa v163, v137, v45 dst_sel:DWORD dst_unused:UNUSED_PAD src0_sel:DWORD src1_sel:WORD_1
	v_mul_f16_sdwa v164, v122, v45 dst_sel:DWORD dst_unused:UNUSED_PAD src0_sel:DWORD src1_sel:WORD_1
	;; [unrolled: 1-line block ×4, first 2 shown]
	v_fma_f16 v57, v57, v56, -v141
	v_fmac_f16_e32 v142, v112, v56
	v_fma_f16 v63, v63, v53, -v143
	v_fmac_f16_e32 v144, v125, v53
	;; [unrolled: 2-line block ×13, first 2 shown]
	v_add_f16_e32 v122, v60, v57
	v_add_f16_e32 v128, v140, v142
	;; [unrolled: 1-line block ×7, first 2 shown]
	v_sub_f16_e32 v125, v140, v142
	v_add_f16_e32 v126, v123, v140
	v_sub_f16_e32 v60, v60, v57
	v_add_f16_e32 v129, v114, v63
	;; [unrolled: 2-line block ×5, first 2 shown]
	v_add_f16_e32 v141, v110, v111
	v_sub_f16_e32 v143, v152, v154
	v_add_f16_e32 v144, v130, v152
	v_add_f16_e32 v145, v152, v154
	;; [unrolled: 1-line block ×8, first 2 shown]
	v_sub_f16_e32 v163, v164, v166
	v_add_f16_e32 v165, v107, v164
	v_add_f16_e32 v164, v164, v166
	v_fma_f16 v122, -0.5, v122, v113
	v_fmac_f16_e32 v123, -0.5, v128
	v_sub_f16_e32 v64, v64, v106
	v_fmac_f16_e32 v114, -0.5, v131
	v_fmac_f16_e32 v124, -0.5, v134
	v_fma_f16 v115, -0.5, v136, v115
	v_fmac_f16_e32 v127, -0.5, v139
	v_add_f16_e32 v140, v116, v110
	v_sub_f16_e32 v147, v110, v111
	v_add_f16_e32 v110, v61, v112
	v_sub_f16_e32 v149, v156, v158
	;; [unrolled: 2-line block ×3, first 2 shown]
	v_sub_f16_e32 v156, v160, v162
	v_add_f16_e32 v157, v108, v160
	v_sub_f16_e32 v118, v118, v119
	v_add_f16_e32 v160, v59, v120
	;; [unrolled: 2-line block ×3, first 2 shown]
	v_add_f16_e32 v131, v63, v106
	v_fmac_f16_e32 v116, -0.5, v141
	v_fmac_f16_e32 v130, -0.5, v145
	v_fma_f16 v58, -0.5, v148, v61
	v_fmac_f16_e32 v109, -0.5, v152
	v_add_f16_e32 v63, v153, v119
	v_fmac_f16_e32 v62, -0.5, v155
	v_fmac_f16_e32 v108, -0.5, v159
	v_fmac_f16_e32 v59, -0.5, v161
	v_fmac_f16_e32 v107, -0.5, v164
	v_fmamk_f16 v119, v125, 0x3aee, v122
	v_fmac_f16_e32 v122, 0xbaee, v125
	v_fmamk_f16 v125, v60, 0xbaee, v123
	v_fmac_f16_e32 v123, 0x3aee, v60
	v_add_f16_e32 v121, v121, v57
	v_add_f16_e32 v126, v126, v142
	;; [unrolled: 1-line block ×3, first 2 shown]
	v_fmamk_f16 v60, v132, 0x3aee, v114
	v_fmac_f16_e32 v114, 0xbaee, v132
	v_fmamk_f16 v132, v135, 0xbaee, v124
	v_fmac_f16_e32 v124, 0x3aee, v135
	;; [unrolled: 2-line block ×4, first 2 shown]
	v_add_f16_e32 v133, v138, v150
	v_add_f16_e32 v134, v140, v111
	;; [unrolled: 1-line block ×8, first 2 shown]
	v_fmamk_f16 v139, v143, 0x3aee, v116
	v_fmac_f16_e32 v116, 0xbaee, v143
	v_fmamk_f16 v140, v147, 0xbaee, v130
	v_fmac_f16_e32 v130, 0x3aee, v147
	;; [unrolled: 2-line block ×8, first 2 shown]
	v_pack_b32_f16 v119, v119, v125
	v_pack_b32_f16 v122, v122, v123
	v_pack_b32_f16 v118, v121, v126
	v_pack_b32_f16 v120, v128, v129
	v_pack_b32_f16 v60, v60, v132
	v_pack_b32_f16 v123, v135, v137
	v_pack_b32_f16 v114, v114, v124
	v_pack_b32_f16 v115, v115, v127
	v_pack_b32_f16 v121, v131, v133
	v_pack_b32_f16 v126, v134, v136
	v_pack_b32_f16 v117, v117, v138
	v_pack_b32_f16 v128, v63, v111
	v_pack_b32_f16 v129, v61, v110
	v_pack_b32_f16 v124, v139, v140
	v_pack_b32_f16 v116, v116, v130
	v_pack_b32_f16 v125, v57, v106
	v_pack_b32_f16 v127, v58, v109
	v_pack_b32_f16 v130, v64, v113
	v_pack_b32_f16 v131, v62, v108
	v_pack_b32_f16 v132, v65, v112
	v_pack_b32_f16 v133, v59, v107
	ds_write_b32 v79, v119 offset:2548
	ds_write_b32 v79, v122 offset:5096
	ds_write2_b32 v79, v118, v120 offset1:91
	ds_write2_b32 v68, v60, v123 offset0:88 offset1:179
	ds_write2_b32 v76, v114, v115 offset0:85 offset1:176
	ds_write2_b32 v74, v121, v126 offset0:54 offset1:145
	ds_write2_b32 v75, v124, v125 offset0:142 offset1:233
	ds_write2_b32 v71, v116, v127 offset0:11 offset1:102
	ds_write2_b32 v70, v117, v128 offset0:108 offset1:199
	ds_write_b32 v79, v129 offset:2184
	ds_write2_b32 v72, v130, v132 offset0:68 offset1:159
	ds_write2_b32 v78, v131, v133 offset0:65 offset1:156
	s_waitcnt lgkmcnt(0)
	s_barrier
	buffer_gl0_inv
	s_clause 0x1
	global_load_dword v60, v[20:21], off offset:1500
	global_load_dword v72, v[66:67], off offset:588
	v_add_co_u32 v74, s0, 0x2000, v26
	v_add_co_ci_u32_e64 v75, s0, 0, v27, s0
	v_add_co_u32 v114, s0, 0x2800, v26
	v_add_co_ci_u32_e64 v115, s0, 0, v27, s0
	s_clause 0x2
	global_load_dword v76, v[66:67], off offset:1176
	global_load_dword v78, v[66:67], off offset:1764
	;; [unrolled: 1-line block ×3, first 2 shown]
	v_add_co_u32 v74, s0, 0x3000, v26
	v_add_co_ci_u32_e64 v75, s0, 0, v27, s0
	s_clause 0x4
	global_load_dword v123, v[114:115], off offset:344
	global_load_dword v124, v[114:115], off offset:932
	;; [unrolled: 1-line block ×5, first 2 shown]
	v_add_co_u32 v114, s0, 0x3800, v26
	v_add_co_ci_u32_e64 v115, s0, 0, v27, s0
	s_clause 0x2
	global_load_dword v128, v[74:75], off offset:1236
	global_load_dword v129, v[74:75], off offset:1824
	;; [unrolled: 1-line block ×3, first 2 shown]
	ds_read2_b32 v[74:75], v79 offset1:147
	s_waitcnt lgkmcnt(0)
	v_lshrrev_b32_e32 v114, 16, v74
	v_lshrrev_b32_e32 v115, 16, v75
	s_waitcnt vmcnt(12)
	v_mul_f16_sdwa v116, v114, v60 dst_sel:DWORD dst_unused:UNUSED_PAD src0_sel:DWORD src1_sel:WORD_1
	v_mul_f16_sdwa v117, v74, v60 dst_sel:DWORD dst_unused:UNUSED_PAD src0_sel:DWORD src1_sel:WORD_1
	s_waitcnt vmcnt(11)
	v_mul_f16_sdwa v118, v115, v72 dst_sel:DWORD dst_unused:UNUSED_PAD src0_sel:DWORD src1_sel:WORD_1
	v_mul_f16_sdwa v119, v75, v72 dst_sel:DWORD dst_unused:UNUSED_PAD src0_sel:DWORD src1_sel:WORD_1
	v_fma_f16 v74, v74, v60, -v116
	v_fmac_f16_e32 v117, v114, v60
	v_fma_f16 v60, v75, v72, -v118
	v_fmac_f16_e32 v119, v115, v72
	v_pack_b32_f16 v72, v74, v117
	v_pack_b32_f16 v60, v60, v119
	ds_write2_b32 v79, v72, v60 offset1:147
	ds_read2_b32 v[74:75], v70 offset0:38 offset1:185
	v_add_nc_u32_e32 v60, 0xd00, v79
	ds_read2_b32 v[114:115], v69 offset0:76 offset1:223
	ds_read2_b32 v[116:117], v60 offset0:50 offset1:197
	;; [unrolled: 1-line block ×4, first 2 shown]
	ds_read_b32 v72, v79 offset:7056
	s_waitcnt lgkmcnt(5)
	v_lshrrev_b32_e32 v131, 16, v74
	s_waitcnt vmcnt(10)
	v_mul_f16_sdwa v132, v74, v76 dst_sel:DWORD dst_unused:UNUSED_PAD src0_sel:DWORD src1_sel:WORD_1
	v_lshrrev_b32_e32 v133, 16, v75
	s_waitcnt vmcnt(9)
	v_mul_f16_sdwa v134, v75, v78 dst_sel:DWORD dst_unused:UNUSED_PAD src0_sel:DWORD src1_sel:WORD_1
	s_waitcnt lgkmcnt(4)
	v_lshrrev_b32_e32 v135, 16, v114
	s_waitcnt vmcnt(8)
	v_mul_f16_sdwa v136, v114, v122 dst_sel:DWORD dst_unused:UNUSED_PAD src0_sel:DWORD src1_sel:WORD_1
	v_lshrrev_b32_e32 v137, 16, v115
	s_waitcnt vmcnt(7)
	v_mul_f16_sdwa v138, v115, v123 dst_sel:DWORD dst_unused:UNUSED_PAD src0_sel:DWORD src1_sel:WORD_1
	;; [unrolled: 7-line block ×5, first 2 shown]
	s_waitcnt lgkmcnt(0)
	v_lshrrev_b32_e32 v151, 16, v72
	v_mul_f16_sdwa v153, v131, v76 dst_sel:DWORD dst_unused:UNUSED_PAD src0_sel:DWORD src1_sel:WORD_1
	v_fmac_f16_e32 v132, v131, v76
	v_mul_f16_sdwa v131, v133, v78 dst_sel:DWORD dst_unused:UNUSED_PAD src0_sel:DWORD src1_sel:WORD_1
	v_fmac_f16_e32 v134, v133, v78
	;; [unrolled: 2-line block ×9, first 2 shown]
	v_mul_f16_sdwa v147, v149, v129 dst_sel:DWORD dst_unused:UNUSED_PAD src0_sel:DWORD src1_sel:WORD_1
	s_waitcnt vmcnt(0)
	v_mul_f16_sdwa v152, v72, v130 dst_sel:DWORD dst_unused:UNUSED_PAD src0_sel:DWORD src1_sel:WORD_1
	v_fmac_f16_e32 v150, v149, v129
	v_mul_f16_sdwa v149, v151, v130 dst_sel:DWORD dst_unused:UNUSED_PAD src0_sel:DWORD src1_sel:WORD_1
	v_fma_f16 v74, v74, v76, -v153
	v_fma_f16 v75, v75, v78, -v131
	;; [unrolled: 1-line block ×10, first 2 shown]
	v_fmac_f16_e32 v152, v151, v130
	v_fma_f16 v72, v72, v130, -v149
	v_pack_b32_f16 v74, v74, v132
	v_pack_b32_f16 v75, v75, v134
	;; [unrolled: 1-line block ×11, first 2 shown]
	ds_write2_b32 v70, v74, v75 offset0:38 offset1:185
	ds_write2_b32 v69, v76, v78 offset0:76 offset1:223
	;; [unrolled: 1-line block ×5, first 2 shown]
	ds_write_b32 v79, v72 offset:7056
	s_and_saveexec_b32 s1, vcc_lo
	s_cbranch_execz .LBB0_9
; %bb.8:
	v_add_co_u32 v74, s0, 0x800, v66
	s_clause 0x2
	global_load_dword v72, v[66:67], off offset:364
	global_load_dword v76, v[66:67], off offset:952
	;; [unrolled: 1-line block ×3, first 2 shown]
	v_add_co_ci_u32_e64 v75, s0, 0, v67, s0
	v_add_co_u32 v114, s0, 0x1000, v66
	v_add_co_ci_u32_e64 v115, s0, 0, v67, s0
	v_add_co_u32 v66, s0, 0x1800, v66
	s_clause 0x4
	global_load_dword v122, v[74:75], off offset:80
	global_load_dword v123, v[74:75], off offset:668
	;; [unrolled: 1-line block ×5, first 2 shown]
	v_add_co_ci_u32_e64 v67, s0, 0, v67, s0
	s_clause 0x4
	global_load_dword v127, v[114:115], off offset:972
	global_load_dword v128, v[114:115], off offset:1560
	;; [unrolled: 1-line block ×5, first 2 shown]
	v_add_nc_u32_e32 v132, 0x600, v79
	v_add_nc_u32_e32 v133, 0xe00, v79
	ds_read2_b32 v[66:67], v79 offset0:91 offset1:238
	v_add_nc_u32_e32 v134, 0x1300, v79
	ds_read2_b32 v[74:75], v68 offset0:39 offset1:186
	ds_read2_b32 v[114:115], v71 offset0:25 offset1:172
	ds_read_b32 v135, v79 offset:7420
	ds_read2_b32 v[116:117], v132 offset0:1 offset1:148
	ds_read2_b32 v[118:119], v133 offset0:77 offset1:224
	;; [unrolled: 1-line block ×3, first 2 shown]
	s_waitcnt lgkmcnt(6)
	v_lshrrev_b32_e32 v136, 16, v66
	v_lshrrev_b32_e32 v137, 16, v67
	s_waitcnt lgkmcnt(2)
	v_lshrrev_b32_e32 v143, 16, v116
	v_lshrrev_b32_e32 v144, 16, v117
	v_lshrrev_b32_e32 v138, 16, v74
	v_lshrrev_b32_e32 v139, 16, v75
	s_waitcnt lgkmcnt(1)
	v_lshrrev_b32_e32 v145, 16, v118
	v_lshrrev_b32_e32 v146, 16, v119
	s_waitcnt lgkmcnt(0)
	v_lshrrev_b32_e32 v147, 16, v120
	v_lshrrev_b32_e32 v148, 16, v121
	;; [unrolled: 1-line block ×5, first 2 shown]
	s_waitcnt vmcnt(12)
	v_mul_f16_sdwa v149, v136, v72 dst_sel:DWORD dst_unused:UNUSED_PAD src0_sel:DWORD src1_sel:WORD_1
	v_mul_f16_sdwa v150, v66, v72 dst_sel:DWORD dst_unused:UNUSED_PAD src0_sel:DWORD src1_sel:WORD_1
	s_waitcnt vmcnt(11)
	v_mul_f16_sdwa v151, v137, v76 dst_sel:DWORD dst_unused:UNUSED_PAD src0_sel:DWORD src1_sel:WORD_1
	v_mul_f16_sdwa v152, v67, v76 dst_sel:DWORD dst_unused:UNUSED_PAD src0_sel:DWORD src1_sel:WORD_1
	s_waitcnt vmcnt(10)
	v_mul_f16_sdwa v153, v143, v78 dst_sel:DWORD dst_unused:UNUSED_PAD src0_sel:DWORD src1_sel:WORD_1
	v_mul_f16_sdwa v154, v116, v78 dst_sel:DWORD dst_unused:UNUSED_PAD src0_sel:DWORD src1_sel:WORD_1
	v_fma_f16 v66, v66, v72, -v149
	v_fmac_f16_e32 v150, v136, v72
	v_fma_f16 v67, v67, v76, -v151
	v_fmac_f16_e32 v152, v137, v76
	v_fma_f16 v72, v116, v78, -v153
	v_fmac_f16_e32 v154, v143, v78
	s_waitcnt vmcnt(9)
	v_mul_f16_sdwa v76, v144, v122 dst_sel:DWORD dst_unused:UNUSED_PAD src0_sel:DWORD src1_sel:WORD_1
	v_mul_f16_sdwa v78, v117, v122 dst_sel:DWORD dst_unused:UNUSED_PAD src0_sel:DWORD src1_sel:WORD_1
	s_waitcnt vmcnt(8)
	v_mul_f16_sdwa v116, v138, v123 dst_sel:DWORD dst_unused:UNUSED_PAD src0_sel:DWORD src1_sel:WORD_1
	v_mul_f16_sdwa v136, v74, v123 dst_sel:DWORD dst_unused:UNUSED_PAD src0_sel:DWORD src1_sel:WORD_1
	;; [unrolled: 3-line block ×10, first 2 shown]
	v_pack_b32_f16 v66, v66, v150
	v_pack_b32_f16 v67, v67, v152
	v_fma_f16 v76, v117, v122, -v76
	v_fmac_f16_e32 v78, v144, v122
	v_fma_f16 v74, v74, v123, -v116
	v_fmac_f16_e32 v136, v138, v123
	;; [unrolled: 2-line block ×9, first 2 shown]
	v_pack_b32_f16 v72, v72, v154
	v_fma_f16 v120, v135, v131, -v164
	v_fmac_f16_e32 v165, v142, v131
	ds_write2_b32 v79, v66, v67 offset0:91 offset1:238
	v_pack_b32_f16 v66, v76, v78
	v_pack_b32_f16 v67, v74, v136
	;; [unrolled: 1-line block ×10, first 2 shown]
	ds_write2_b32 v132, v72, v66 offset0:1 offset1:148
	ds_write2_b32 v68, v67, v74 offset0:39 offset1:186
	;; [unrolled: 1-line block ×5, first 2 shown]
	ds_write_b32 v79, v117 offset:7420
.LBB0_9:
	s_or_b32 exec_lo, exec_lo, s1
	s_waitcnt lgkmcnt(0)
	s_barrier
	buffer_gl0_inv
	ds_read2_b32 v[67:68], v79 offset1:147
	ds_read2_b32 v[75:76], v70 offset0:38 offset1:185
	ds_read2_b32 v[71:72], v69 offset0:76 offset1:223
	;; [unrolled: 1-line block ×5, first 2 shown]
	ds_read_b32 v115, v79 offset:7056
	s_and_saveexec_b32 s0, vcc_lo
	s_cbranch_execz .LBB0_11
; %bb.10:
	v_add_nc_u32_e32 v29, 0x600, v79
	v_add_nc_u32_e32 v30, 0xa00, v79
	;; [unrolled: 1-line block ×3, first 2 shown]
	ds_read2_b32 v[57:58], v79 offset0:91 offset1:238
	ds_read_b32 v96, v79 offset:7420
	ds_read2_b32 v[63:64], v29 offset0:1 offset1:148
	v_add_nc_u32_e32 v29, 0x1300, v79
	v_add_nc_u32_e32 v32, 0x1800, v79
	ds_read2_b32 v[60:61], v30 offset0:39 offset1:186
	ds_read2_b32 v[65:66], v31 offset0:77 offset1:224
	;; [unrolled: 1-line block ×4, first 2 shown]
	s_waitcnt lgkmcnt(6)
	v_lshrrev_b32_e32 v106, 16, v57
	v_lshrrev_b32_e32 v109, 16, v58
	s_waitcnt lgkmcnt(5)
	v_lshrrev_b32_e32 v97, 16, v96
	s_waitcnt lgkmcnt(4)
	v_lshrrev_b32_e32 v111, 16, v63
	v_lshrrev_b32_e32 v113, 16, v64
	s_waitcnt lgkmcnt(3)
	v_lshrrev_b32_e32 v108, 16, v60
	;; [unrolled: 3-line block ×5, first 2 shown]
	v_lshrrev_b32_e32 v98, 16, v32
	v_mov_b32_e32 v59, v66
	v_mov_b32_e32 v62, v60
.LBB0_11:
	s_or_b32 exec_lo, exec_lo, s0
	s_waitcnt lgkmcnt(6)
	v_pk_add_f16 v60, v67, v68
	s_waitcnt lgkmcnt(0)
	v_pk_add_f16 v114, v115, v68
	v_pk_add_f16 v139, v75, v78 neg_lo:[0,1] neg_hi:[0,1]
	v_mov_b32_e32 v117, 0x388b
	v_pk_add_f16 v142, v78, v75
	v_pk_add_f16 v66, v60, v75
	v_pk_add_f16 v60, v68, v115 neg_lo:[0,1] neg_hi:[0,1]
	v_mov_b32_e32 v116, 0xba95
	v_mov_b32_e32 v121, 0xb5ac
	v_mul_f16_sdwa v125, v114, v117 dst_sel:DWORD dst_unused:UNUSED_PAD src0_sel:WORD_1 src1_sel:DWORD
	v_pk_add_f16 v66, v66, v76
	v_pk_mul_f16 v68, 0xb770, v60 op_sel_hi:[0,1]
	v_mov_b32_e32 v119, 0x2fb7
	v_mov_b32_e32 v120, 0xbb7b
	v_mul_f16_sdwa v124, v60, v116 dst_sel:DWORD dst_unused:UNUSED_PAD src0_sel:WORD_1 src1_sel:DWORD
	v_pk_add_f16 v66, v66, v71
	v_fmamk_f16 v132, v60, 0x3a95, v125
	v_mul_f16_sdwa v144, v142, v121 dst_sel:DWORD dst_unused:UNUSED_PAD src0_sel:WORD_1 src1_sel:DWORD
	v_mov_b32_e32 v118, 0xbbf1
	v_mul_f16_sdwa v127, v114, v119 dst_sel:DWORD dst_unused:UNUSED_PAD src0_sel:WORD_1 src1_sel:DWORD
	v_pk_add_f16 v66, v66, v72
	v_fmamk_f16 v131, v114, 0x388b, v124
	v_fma_f16 v124, v114, 0x388b, -v124
	v_fmac_f16_e32 v125, 0xba95, v60
	v_add_f16_sdwa v132, v67, v132 dst_sel:DWORD dst_unused:UNUSED_PAD src0_sel:WORD_1 src1_sel:DWORD
	v_pk_add_f16 v130, v66, v69
	v_pk_fma_f16 v66, 0x3b15, v114, v68 op_sel:[0,0,1] op_sel_hi:[0,1,0]
	v_pk_fma_f16 v68, 0x3b15, v114, v68 op_sel:[0,0,1] op_sel_hi:[0,1,0] neg_lo:[0,0,1] neg_hi:[0,0,1]
	v_mul_f16_sdwa v143, v139, v120 dst_sel:DWORD dst_unused:UNUSED_PAD src0_sel:WORD_1 src1_sel:DWORD
	v_fmamk_f16 v148, v139, 0x3b7b, v144
	v_pk_add_f16 v130, v130, v70
	v_mul_f16_sdwa v126, v60, v118 dst_sel:DWORD dst_unused:UNUSED_PAD src0_sel:WORD_1 src1_sel:DWORD
	v_bfi_b32 v137, 0xffff, v66, v68
	v_mul_f16_sdwa v128, v60, v120 dst_sel:DWORD dst_unused:UNUSED_PAD src0_sel:WORD_1 src1_sel:DWORD
	v_fmamk_f16 v134, v60, 0x3bf1, v127
	v_pk_add_f16 v130, v130, v73
	v_add_f16_e32 v131, v67, v131
	v_pk_add_f16 v137, v67, v137
	v_add_f16_e32 v124, v67, v124
	v_add_f16_sdwa v125, v67, v125 dst_sel:DWORD dst_unused:UNUSED_PAD src0_sel:WORD_1 src1_sel:DWORD
	v_pk_add_f16 v130, v130, v74
	v_fmamk_f16 v146, v142, 0xb5ac, v143
	v_mov_b32_e32 v147, 0xb3a8
	v_add_f16_e32 v132, v148, v132
	v_fma_f16 v143, v142, 0xb5ac, -v143
	v_pk_add_f16 v130, v130, v77
	v_fmac_f16_e32 v144, 0xbb7b, v139
	v_mov_b32_e32 v150, 0x394e
	v_mul_f16_sdwa v129, v114, v121 dst_sel:DWORD dst_unused:UNUSED_PAD src0_sel:WORD_1 src1_sel:DWORD
	v_fmamk_f16 v133, v114, 0x2fb7, v126
	v_pk_add_f16 v130, v130, v78
	v_pk_mul_f16 v78, 0xba95, v139 op_sel_hi:[0,1]
	v_fmamk_f16 v135, v114, 0xb5ac, v128
	v_add_f16_sdwa v134, v67, v134 dst_sel:DWORD dst_unused:UNUSED_PAD src0_sel:WORD_1 src1_sel:DWORD
	v_add_f16_e32 v131, v146, v131
	v_mul_f16_sdwa v146, v139, v147 dst_sel:DWORD dst_unused:UNUSED_PAD src0_sel:WORD_1 src1_sel:DWORD
	v_pk_fma_f16 v75, 0x388b, v142, v78 op_sel:[0,0,1] op_sel_hi:[0,1,0]
	v_pk_fma_f16 v78, 0x388b, v142, v78 op_sel:[0,0,1] op_sel_hi:[0,1,0] neg_lo:[0,0,1] neg_hi:[0,0,1]
	v_add_f16_e32 v124, v143, v124
	v_add_f16_e32 v125, v144, v125
	v_mul_f16_sdwa v144, v139, v150 dst_sel:DWORD dst_unused:UNUSED_PAD src0_sel:WORD_1 src1_sel:DWORD
	v_mov_b32_e32 v122, 0xb94e
	v_bfi_b32 v145, 0xffff, v75, v78
	v_mov_b32_e32 v123, 0xb9fd
	v_fma_f16 v126, v114, 0x2fb7, -v126
	v_fmamk_f16 v136, v60, 0x3b7b, v129
	v_fma_f16 v128, v114, 0xb5ac, -v128
	v_pk_add_f16 v137, v145, v137
	v_mov_b32_e32 v145, 0xbbc4
	v_add_f16_e32 v133, v67, v133
	v_add_f16_e32 v135, v67, v135
	v_fmamk_f16 v149, v142, 0xbbc4, v146
	v_fmac_f16_e32 v127, 0xbbf1, v60
	v_mul_f16_sdwa v148, v142, v145 dst_sel:DWORD dst_unused:UNUSED_PAD src0_sel:WORD_1 src1_sel:DWORD
	v_add_f16_e32 v126, v67, v126
	v_pk_add_f16 v115, v130, v115
	v_add_f16_sdwa v130, v67, v136 dst_sel:DWORD dst_unused:UNUSED_PAD src0_sel:WORD_1 src1_sel:DWORD
	v_mul_f16_sdwa v136, v60, v122 dst_sel:DWORD dst_unused:UNUSED_PAD src0_sel:WORD_1 src1_sel:DWORD
	v_fmamk_f16 v143, v139, 0x33a8, v148
	v_add_f16_e32 v128, v67, v128
	v_add_f16_e32 v133, v149, v133
	v_fma_f16 v146, v142, 0xbbc4, -v146
	v_mul_f16_sdwa v149, v142, v123 dst_sel:DWORD dst_unused:UNUSED_PAD src0_sel:WORD_1 src1_sel:DWORD
	v_add_f16_e32 v134, v143, v134
	v_fmamk_f16 v143, v142, 0xb9fd, v144
	v_mov_b32_e32 v151, 0x3bf1
	v_add_f16_sdwa v127, v67, v127 dst_sel:DWORD dst_unused:UNUSED_PAD src0_sel:WORD_1 src1_sel:DWORD
	v_mul_f16_sdwa v138, v114, v123 dst_sel:DWORD dst_unused:UNUSED_PAD src0_sel:WORD_1 src1_sel:DWORD
	v_fmac_f16_e32 v129, 0xbb7b, v60
	v_add_f16_e32 v135, v143, v135
	v_fma_f16 v143, v142, 0xb9fd, -v144
	v_fmamk_f16 v140, v114, 0xb9fd, v136
	v_fma_f16 v136, v114, 0xb9fd, -v136
	v_fmac_f16_e32 v148, 0xb3a8, v139
	v_add_f16_e32 v126, v146, v126
	v_fmamk_f16 v146, v139, 0xb94e, v149
	v_mul_f16_sdwa v144, v139, v151 dst_sel:DWORD dst_unused:UNUSED_PAD src0_sel:WORD_1 src1_sel:DWORD
	v_add_f16_e32 v128, v143, v128
	v_pk_add_f16 v143, v76, v77 neg_lo:[0,1] neg_hi:[0,1]
	v_fmamk_f16 v141, v60, 0x394e, v138
	v_add_f16_sdwa v129, v67, v129 dst_sel:DWORD dst_unused:UNUSED_PAD src0_sel:WORD_1 src1_sel:DWORD
	v_add_f16_e32 v140, v67, v140
	v_fmac_f16_e32 v138, 0xb94e, v60
	v_add_f16_e32 v136, v67, v136
	v_add_f16_e32 v127, v148, v127
	;; [unrolled: 1-line block ×3, first 2 shown]
	v_fmac_f16_e32 v149, 0x394e, v139
	v_mul_f16_sdwa v146, v142, v119 dst_sel:DWORD dst_unused:UNUSED_PAD src0_sel:WORD_1 src1_sel:DWORD
	v_fmamk_f16 v148, v142, 0x2fb7, v144
	v_pk_add_f16 v76, v77, v76
	v_pk_mul_f16 v77, 0xbbf1, v143 op_sel_hi:[0,1]
	v_fma_f16 v144, v142, 0x2fb7, -v144
	v_add_f16_sdwa v141, v67, v141 dst_sel:DWORD dst_unused:UNUSED_PAD src0_sel:WORD_1 src1_sel:DWORD
	v_add_f16_sdwa v138, v67, v138 dst_sel:DWORD dst_unused:UNUSED_PAD src0_sel:WORD_1 src1_sel:DWORD
	v_add_f16_e32 v129, v149, v129
	v_fmamk_f16 v149, v139, 0xbbf1, v146
	v_add_f16_e32 v140, v148, v140
	v_fmac_f16_e32 v146, 0x3bf1, v139
	v_pk_fma_f16 v148, 0x2fb7, v76, v77 op_sel:[0,0,1] op_sel_hi:[0,1,0]
	v_pk_fma_f16 v77, 0x2fb7, v76, v77 op_sel:[0,0,1] op_sel_hi:[0,1,0] neg_lo:[0,0,1] neg_hi:[0,0,1]
	v_add_f16_e32 v136, v144, v136
	v_mul_f16_sdwa v144, v143, v147 dst_sel:DWORD dst_unused:UNUSED_PAD src0_sel:WORD_1 src1_sel:DWORD
	v_mul_f16_sdwa v147, v76, v145 dst_sel:DWORD dst_unused:UNUSED_PAD src0_sel:WORD_1 src1_sel:DWORD
	v_add_f16_e32 v141, v149, v141
	v_add_f16_e32 v138, v146, v138
	v_bfi_b32 v146, 0xffff, v148, v77
	v_mov_b32_e32 v149, 0x3b7b
	v_fmamk_f16 v152, v76, 0xbbc4, v144
	v_fmamk_f16 v153, v143, 0x33a8, v147
	v_fma_f16 v144, v76, 0xbbc4, -v144
	v_pk_add_f16 v137, v146, v137
	v_mul_f16_sdwa v146, v143, v149 dst_sel:DWORD dst_unused:UNUSED_PAD src0_sel:WORD_1 src1_sel:DWORD
	v_add_f16_e32 v131, v152, v131
	v_add_f16_e32 v132, v153, v132
	v_fmac_f16_e32 v147, 0xb3a8, v143
	v_mul_f16_sdwa v152, v76, v121 dst_sel:DWORD dst_unused:UNUSED_PAD src0_sel:WORD_1 src1_sel:DWORD
	v_mov_b32_e32 v153, 0x3b15
	v_add_f16_e32 v124, v144, v124
	v_fmamk_f16 v144, v76, 0xb5ac, v146
	v_mov_b32_e32 v149, 0x3770
	v_add_f16_e32 v125, v147, v125
	v_fmamk_f16 v147, v143, 0xbb7b, v152
	v_mul_f16_sdwa v154, v76, v153 dst_sel:DWORD dst_unused:UNUSED_PAD src0_sel:WORD_1 src1_sel:DWORD
	v_add_f16_e32 v133, v144, v133
	v_mul_f16_sdwa v144, v143, v149 dst_sel:DWORD dst_unused:UNUSED_PAD src0_sel:WORD_1 src1_sel:DWORD
	v_fma_f16 v146, v76, 0xb5ac, -v146
	v_add_f16_e32 v134, v147, v134
	v_fmamk_f16 v147, v143, 0xb770, v154
	v_fmac_f16_e32 v152, 0x3b7b, v143
	v_fmamk_f16 v155, v76, 0x3b15, v144
	v_add_f16_e32 v126, v146, v126
	v_mul_f16_sdwa v146, v143, v116 dst_sel:DWORD dst_unused:UNUSED_PAD src0_sel:WORD_1 src1_sel:DWORD
	v_add_f16_e32 v130, v147, v130
	v_pk_add_f16 v147, v71, v74 neg_lo:[0,1] neg_hi:[0,1]
	v_add_f16_e32 v127, v152, v127
	v_add_f16_e32 v135, v155, v135
	v_fma_f16 v144, v76, 0x3b15, -v144
	v_fmamk_f16 v152, v76, 0x388b, v146
	v_mul_f16_sdwa v155, v76, v117 dst_sel:DWORD dst_unused:UNUSED_PAD src0_sel:WORD_1 src1_sel:DWORD
	v_pk_add_f16 v71, v74, v71
	v_pk_mul_f16 v74, 0xbb7b, v147 op_sel_hi:[0,1]
	v_fmac_f16_e32 v154, 0x3770, v143
	v_add_f16_e32 v128, v144, v128
	v_add_f16_e32 v140, v152, v140
	v_fmamk_f16 v144, v143, 0x3a95, v155
	v_pk_fma_f16 v152, 0xb5ac, v71, v74 op_sel:[0,0,1] op_sel_hi:[0,1,0]
	v_pk_fma_f16 v74, 0xb5ac, v71, v74 op_sel:[0,0,1] op_sel_hi:[0,1,0] neg_lo:[0,0,1] neg_hi:[0,0,1]
	v_mul_f16_sdwa v150, v147, v150 dst_sel:DWORD dst_unused:UNUSED_PAD src0_sel:WORD_1 src1_sel:DWORD
	v_fma_f16 v146, v76, 0x388b, -v146
	v_add_f16_e32 v129, v154, v129
	v_add_f16_e32 v141, v144, v141
	v_bfi_b32 v144, 0xffff, v152, v74
	v_fmamk_f16 v154, v71, 0xb9fd, v150
	v_add_f16_e32 v136, v146, v136
	v_mul_f16_sdwa v146, v71, v123 dst_sel:DWORD dst_unused:UNUSED_PAD src0_sel:WORD_1 src1_sel:DWORD
	v_fmac_f16_e32 v155, 0xba95, v143
	v_pk_add_f16 v137, v144, v137
	v_add_f16_e32 v131, v154, v131
	v_mul_f16_sdwa v144, v147, v149 dst_sel:DWORD dst_unused:UNUSED_PAD src0_sel:WORD_1 src1_sel:DWORD
	v_fmamk_f16 v154, v147, 0xb94e, v146
	v_fmac_f16_e32 v146, 0x394e, v147
	v_add_f16_e32 v138, v155, v138
	v_mul_f16_sdwa v155, v71, v153 dst_sel:DWORD dst_unused:UNUSED_PAD src0_sel:WORD_1 src1_sel:DWORD
	v_fma_f16 v150, v71, 0xb9fd, -v150
	v_fmamk_f16 v156, v71, 0x3b15, v144
	v_add_f16_e32 v125, v146, v125
	v_mul_f16_sdwa v118, v147, v118 dst_sel:DWORD dst_unused:UNUSED_PAD src0_sel:WORD_1 src1_sel:DWORD
	v_mul_f16_sdwa v146, v71, v119 dst_sel:DWORD dst_unused:UNUSED_PAD src0_sel:WORD_1 src1_sel:DWORD
	v_add_f16_e32 v132, v154, v132
	v_fmamk_f16 v154, v147, 0xb770, v155
	v_add_f16_e32 v124, v150, v124
	v_add_f16_e32 v133, v156, v133
	v_fmamk_f16 v150, v71, 0x2fb7, v118
	v_fmamk_f16 v156, v147, 0x3bf1, v146
	v_add_f16_e32 v134, v154, v134
	v_fma_f16 v144, v71, 0x3b15, -v144
	v_mov_b32_e32 v154, 0x33a8
	v_add_f16_e32 v135, v150, v135
	v_add_f16_e32 v130, v156, v130
	v_fma_f16 v118, v71, 0x2fb7, -v118
	v_pk_add_f16 v150, v72, v73 neg_lo:[0,1] neg_hi:[0,1]
	v_fmac_f16_e32 v146, 0xbbf1, v147
	v_mul_f16_sdwa v156, v71, v145 dst_sel:DWORD dst_unused:UNUSED_PAD src0_sel:WORD_1 src1_sel:DWORD
	v_fmac_f16_e32 v155, 0x3770, v147
	v_add_f16_e32 v126, v144, v126
	v_mul_f16_sdwa v144, v147, v154 dst_sel:DWORD dst_unused:UNUSED_PAD src0_sel:WORD_1 src1_sel:DWORD
	v_pk_add_f16 v72, v73, v72
	v_pk_mul_f16 v73, 0xb94e, v150 op_sel_hi:[0,1]
	v_add_f16_e32 v118, v118, v128
	v_add_f16_e32 v128, v146, v129
	v_fmamk_f16 v129, v147, 0xb3a8, v156
	v_add_f16_e32 v127, v155, v127
	v_fmamk_f16 v155, v71, 0xbbc4, v144
	v_pk_fma_f16 v146, 0xb9fd, v72, v73 op_sel:[0,0,1] op_sel_hi:[0,1,0]
	v_pk_fma_f16 v73, 0xb9fd, v72, v73 op_sel:[0,0,1] op_sel_hi:[0,1,0] neg_lo:[0,0,1] neg_hi:[0,0,1]
	v_fma_f16 v144, v71, 0xbbc4, -v144
	v_add_f16_e32 v129, v129, v141
	v_mul_f16_sdwa v141, v150, v151 dst_sel:DWORD dst_unused:UNUSED_PAD src0_sel:WORD_1 src1_sel:DWORD
	v_mul_f16_sdwa v119, v72, v119 dst_sel:DWORD dst_unused:UNUSED_PAD src0_sel:WORD_1 src1_sel:DWORD
	v_bfi_b32 v151, 0xffff, v146, v73
	v_add_f16_e32 v136, v144, v136
	v_mul_f16_sdwa v116, v150, v116 dst_sel:DWORD dst_unused:UNUSED_PAD src0_sel:WORD_1 src1_sel:DWORD
	v_fmamk_f16 v144, v72, 0x2fb7, v141
	v_fma_f16 v141, v72, 0x2fb7, -v141
	v_pk_add_f16 v137, v151, v137
	v_fmamk_f16 v151, v150, 0xbbf1, v119
	v_fmac_f16_e32 v119, 0x3bf1, v150
	v_add_f16_e32 v131, v144, v131
	v_fmamk_f16 v144, v72, 0x388b, v116
	v_add_f16_e32 v124, v141, v124
	v_mul_f16_sdwa v141, v72, v117 dst_sel:DWORD dst_unused:UNUSED_PAD src0_sel:WORD_1 src1_sel:DWORD
	v_add_f16_e32 v119, v119, v125
	v_add_f16_e32 v132, v151, v132
	;; [unrolled: 1-line block ×3, first 2 shown]
	v_mul_f16_sdwa v133, v150, v154 dst_sel:DWORD dst_unused:UNUSED_PAD src0_sel:WORD_1 src1_sel:DWORD
	v_mul_f16_sdwa v144, v72, v145 dst_sel:DWORD dst_unused:UNUSED_PAD src0_sel:WORD_1 src1_sel:DWORD
	v_fmamk_f16 v145, v150, 0x3a95, v141
	v_fma_f16 v116, v72, 0x388b, -v116
	v_fmac_f16_e32 v141, 0xba95, v150
	v_fmamk_f16 v151, v72, 0xbbc4, v133
	v_fmamk_f16 v154, v150, 0xb3a8, v144
	v_add_f16_e32 v134, v145, v134
	v_add_f16_e32 v116, v116, v126
	;; [unrolled: 1-line block ×4, first 2 shown]
	v_mul_f16_sdwa v135, v150, v149 dst_sel:DWORD dst_unused:UNUSED_PAD src0_sel:WORD_1 src1_sel:DWORD
	v_pk_add_f16 v145, v69, v70 neg_lo:[0,1] neg_hi:[0,1]
	v_fmac_f16_e32 v144, 0x33a8, v150
	v_pk_add_f16 v69, v70, v69
	v_fmac_f16_e32 v156, 0x33a8, v147
	v_mul_f16_sdwa v141, v72, v153 dst_sel:DWORD dst_unused:UNUSED_PAD src0_sel:WORD_1 src1_sel:DWORD
	v_fmamk_f16 v151, v72, 0x3b15, v135
	v_add_f16_e32 v128, v144, v128
	v_mul_f16_sdwa v144, v145, v149 dst_sel:DWORD dst_unused:UNUSED_PAD src0_sel:WORD_1 src1_sel:DWORD
	v_fma_f16 v135, v72, 0x3b15, -v135
	v_mul_f16_sdwa v149, v69, v153 dst_sel:DWORD dst_unused:UNUSED_PAD src0_sel:WORD_1 src1_sel:DWORD
	v_add_f16_e32 v138, v156, v138
	v_add_f16_e32 v130, v154, v130
	v_fmamk_f16 v154, v150, 0xb770, v141
	v_fmac_f16_e32 v141, 0x3770, v150
	v_add_f16_e32 v135, v135, v136
	v_fmamk_f16 v136, v145, 0xb770, v149
	v_add_f16_e32 v140, v155, v140
	v_fma_f16 v133, v72, 0xbbc4, -v133
	v_pk_mul_f16 v70, 0xb3a8, v145 op_sel_hi:[0,1]
	v_add_f16_e32 v138, v141, v138
	v_mul_f16_sdwa v122, v145, v122 dst_sel:DWORD dst_unused:UNUSED_PAD src0_sel:WORD_1 src1_sel:DWORD
	v_add_f16_e32 v132, v136, v132
	v_fma_f16 v136, v69, 0x3b15, -v144
	v_mov_b32_e32 v141, 0x3a95
	v_mul_f16_sdwa v123, v69, v123 dst_sel:DWORD dst_unused:UNUSED_PAD src0_sel:WORD_1 src1_sel:DWORD
	v_add_f16_e32 v118, v133, v118
	v_add_f16_e32 v133, v151, v140
	v_pk_fma_f16 v140, 0xbbc4, v69, v70 op_sel:[0,0,1] op_sel_hi:[0,1,0]
	v_pk_fma_f16 v70, 0xbbc4, v69, v70 op_sel:[0,0,1] op_sel_hi:[0,1,0] neg_lo:[0,0,1] neg_hi:[0,0,1]
	v_fmamk_f16 v153, v69, 0x3b15, v144
	v_fmamk_f16 v144, v69, 0xb9fd, v122
	v_add_f16_e32 v124, v136, v124
	v_mul_f16_sdwa v136, v145, v141 dst_sel:DWORD dst_unused:UNUSED_PAD src0_sel:WORD_1 src1_sel:DWORD
	v_fmamk_f16 v141, v145, 0x394e, v123
	v_fma_f16 v122, v69, 0xb9fd, -v122
	v_fmac_f16_e32 v123, 0xb94e, v145
	v_mul_f16_sdwa v117, v69, v117 dst_sel:DWORD dst_unused:UNUSED_PAD src0_sel:WORD_1 src1_sel:DWORD
	v_bfi_b32 v151, 0xffff, v140, v70
	v_mul_f16_sdwa v121, v69, v121 dst_sel:DWORD dst_unused:UNUSED_PAD src0_sel:WORD_1 src1_sel:DWORD
	v_add_f16_e32 v116, v122, v116
	v_add_f16_e32 v122, v123, v126
	v_fmamk_f16 v126, v145, 0xba95, v117
	v_fmac_f16_e32 v117, 0x3a95, v145
	v_add_f16_e32 v129, v154, v129
	v_pk_add_f16 v137, v151, v137
	v_add_f16_e32 v125, v144, v125
	v_fmamk_f16 v144, v69, 0x388b, v136
	v_add_f16_e32 v117, v117, v128
	v_fmamk_f16 v128, v145, 0x3b7b, v121
	v_pk_mul_f16 v114, 0xbbc4, v114 op_sel_hi:[0,1]
	s_barrier
	buffer_gl0_inv
	v_add_f16_e32 v123, v144, v127
	v_fma_f16 v127, v69, 0x388b, -v136
	v_mul_f16_sdwa v120, v145, v120 dst_sel:DWORD dst_unused:UNUSED_PAD src0_sel:WORD_1 src1_sel:DWORD
	v_add_f16_e32 v128, v128, v129
	v_pk_fma_f16 v129, 0xb3a8, v60, v114 op_sel:[0,0,1] op_sel_hi:[0,1,0]
	ds_write2_b32 v95, v115, v137 offset1:1
	v_pk_mul_f16 v115, 0x3b15, v142 op_sel_hi:[0,1]
	v_add_f16_e32 v131, v153, v131
	v_add_f16_e32 v134, v141, v134
	;; [unrolled: 1-line block ×4, first 2 shown]
	v_fmamk_f16 v127, v69, 0xb5ac, v120
	v_alignbit_b32 v130, s0, v129, 16
	v_pk_fma_f16 v60, 0xb3a8, v60, v114 op_sel:[0,0,1] op_sel_hi:[0,1,0] neg_lo:[0,1,0] neg_hi:[0,1,0]
	v_pk_fma_f16 v114, 0x3770, v139, v115 op_sel:[0,0,1] op_sel_hi:[0,1,0]
	v_pk_mul_f16 v76, 0xb9fd, v76 op_sel_hi:[0,1]
	v_add_f16_e32 v127, v127, v133
	v_pack_b32_f16 v125, v125, v134
	v_pack_b32_f16 v131, v131, v132
	v_pk_add_f16 v130, v67, v130
	v_alignbit_b32 v132, s0, v67, 16
	v_pk_add_f16 v60, v67, v60 op_sel:[1,0] op_sel_hi:[0,1]
	v_alignbit_b32 v133, s0, v114, 16
	v_pk_fma_f16 v115, 0x3770, v139, v115 op_sel:[0,0,1] op_sel_hi:[0,1,0] neg_lo:[0,1,0] neg_hi:[0,1,0]
	v_pk_fma_f16 v134, 0xb94e, v143, v76 op_sel:[0,0,1] op_sel_hi:[0,1,0]
	v_pk_mul_f16 v71, 0x388b, v71 op_sel_hi:[0,1]
	v_pk_add_f16 v129, v132, v129
	v_pk_add_f16 v130, v133, v130
	;; [unrolled: 1-line block ×3, first 2 shown]
	v_alignbit_b32 v115, s0, v134, 16
	v_pk_fma_f16 v76, 0xb94e, v143, v76 op_sel:[0,0,1] op_sel_hi:[0,1,0] neg_lo:[0,1,0] neg_hi:[0,1,0]
	v_pk_fma_f16 v132, 0x3a95, v147, v71 op_sel:[0,0,1] op_sel_hi:[0,1,0]
	v_pk_mul_f16 v72, 0xb5ac, v72 op_sel_hi:[0,1]
	v_bfi_b32 v66, 0xffff, v68, v66
	v_pk_add_f16 v114, v114, v129
	v_pk_add_f16 v115, v115, v130
	;; [unrolled: 1-line block ×3, first 2 shown]
	v_alignbit_b32 v76, s0, v132, 16
	v_pk_fma_f16 v71, 0x3a95, v147, v71 op_sel:[0,0,1] op_sel_hi:[0,1,0] neg_lo:[0,1,0] neg_hi:[0,1,0]
	v_pk_fma_f16 v129, 0xbb7b, v150, v72 op_sel:[0,0,1] op_sel_hi:[0,1,0]
	v_pk_add_f16 v66, v67, v66
	v_bfi_b32 v67, 0xffff, v78, v75
	v_fma_f16 v120, v69, 0xb5ac, -v120
	v_pk_add_f16 v114, v134, v114
	v_pk_add_f16 v68, v76, v115
	;; [unrolled: 1-line block ×3, first 2 shown]
	v_alignbit_b32 v71, s0, v129, 16
	v_pk_mul_f16 v69, 0x2fb7, v69 op_sel_hi:[0,1]
	v_pk_add_f16 v66, v67, v66
	v_bfi_b32 v67, 0xffff, v77, v148
	v_pk_add_f16 v75, v132, v114
	v_pk_fma_f16 v72, 0xbb7b, v150, v72 op_sel:[0,0,1] op_sel_hi:[0,1,0] neg_lo:[0,1,0] neg_hi:[0,1,0]
	v_pk_add_f16 v68, v71, v68
	v_pk_fma_f16 v71, 0x3bf1, v145, v69 op_sel:[0,0,1] op_sel_hi:[0,1,0]
	v_pk_add_f16 v66, v67, v66
	v_bfi_b32 v67, 0xffff, v74, v152
	v_pk_add_f16 v60, v72, v60
	v_pk_add_f16 v72, v129, v75
	v_alignbit_b32 v75, s0, v71, 16
	v_pk_fma_f16 v69, 0x3bf1, v145, v69 op_sel:[0,0,1] op_sel_hi:[0,1,0] neg_lo:[0,1,0] neg_hi:[0,1,0]
	v_fmac_f16_e32 v121, 0xbb7b, v145
	v_fmac_f16_e32 v149, 0x3770, v145
	v_pk_add_f16 v66, v67, v66
	v_bfi_b32 v67, 0xffff, v73, v146
	v_pk_add_f16 v68, v75, v68
	v_pk_add_f16 v60, v69, v60
	;; [unrolled: 1-line block ×3, first 2 shown]
	v_add_f16_e32 v120, v120, v135
	v_add_f16_e32 v121, v121, v138
	;; [unrolled: 1-line block ×3, first 2 shown]
	v_pk_add_f16 v66, v67, v66
	v_bfi_b32 v67, 0xffff, v70, v140
	v_pack_b32_f16 v71, v127, v128
	v_pack_b32_f16 v72, v123, v126
	v_alignbit_b32 v69, v69, v60, 16
	v_pack_b32_f16 v60, v68, v60
	v_pack_b32_f16 v68, v118, v117
	;; [unrolled: 1-line block ×5, first 2 shown]
	v_pk_add_f16 v66, v67, v66
	ds_write2_b32 v95, v131, v125 offset0:2 offset1:3
	ds_write2_b32 v95, v72, v71 offset0:4 offset1:5
	ds_write2_b32 v95, v60, v69 offset0:6 offset1:7
	ds_write2_b32 v95, v70, v68 offset0:8 offset1:9
	ds_write2_b32 v95, v74, v73 offset0:10 offset1:11
	ds_write_b32 v95, v66 offset:48
	s_and_saveexec_b32 s0, vcc_lo
	s_cbranch_execz .LBB0_13
; %bb.12:
	v_add_f16_e32 v115, v97, v109
	v_sub_f16_e32 v69, v58, v96
	v_add_f16_e32 v116, v98, v111
	v_sub_f16_e32 v66, v63, v32
	v_add_f16_e32 v117, v99, v113
	v_mul_f16_e32 v118, 0xbbc4, v115
	v_sub_f16_e32 v67, v64, v31
	v_mul_f16_e32 v120, 0x3b15, v116
	v_add_f16_e32 v119, v100, v108
	v_mul_f16_e32 v122, 0xb9fd, v117
	v_fmamk_f16 v70, v69, 0x33a8, v118
	v_sub_f16_e32 v123, v109, v97
	v_fmamk_f16 v71, v66, 0xb770, v120
	v_sub_f16_e32 v60, v62, v30
	v_mul_f16_e32 v124, 0x388b, v119
	v_add_f16_e32 v72, v106, v70
	v_add_f16_e32 v70, v96, v58
	v_fmamk_f16 v73, v67, 0x394e, v122
	v_mul_f16_e32 v125, 0xb3a8, v123
	v_sub_f16_e32 v126, v111, v98
	v_add_f16_e32 v72, v71, v72
	v_add_f16_e32 v71, v32, v63
	v_fmamk_f16 v74, v60, 0xba95, v124
	v_sub_f16_e32 v128, v113, v99
	v_mul_f16_e32 v127, 0x3770, v126
	v_add_f16_e32 v72, v73, v72
	v_fmamk_f16 v73, v70, 0xbbc4, v125
	v_sub_f16_e32 v131, v108, v100
	v_mul_f16_e32 v130, 0xb94e, v128
	v_fmamk_f16 v75, v71, 0x3b15, v127
	v_add_f16_e32 v74, v74, v72
	v_add_f16_e32 v73, v57, v73
	;; [unrolled: 1-line block ×4, first 2 shown]
	v_mul_f16_e32 v133, 0x3a95, v131
	v_sub_f16_e32 v135, v110, v101
	v_add_f16_e32 v76, v75, v73
	v_fmamk_f16 v78, v72, 0xb9fd, v130
	v_add_f16_e32 v75, v30, v62
	v_sub_f16_e32 v68, v61, v29
	v_mul_f16_e32 v129, 0xb5ac, v121
	v_add_f16_e32 v132, v107, v112
	v_add_f16_e32 v78, v78, v76
	v_fmamk_f16 v95, v75, 0x388b, v133
	v_add_f16_e32 v76, v29, v61
	v_mul_f16_e32 v136, 0xbb7b, v135
	v_mul_f16_e32 v137, 0xb9fd, v115
	v_fmamk_f16 v77, v68, 0x3b7b, v129
	v_mul_f16_e32 v134, 0x2fb7, v132
	v_sub_f16_e32 v73, v65, v59
	v_add_f16_e32 v78, v95, v78
	v_fmamk_f16 v95, v76, 0xb5ac, v136
	v_fmamk_f16 v114, v69, 0x394e, v137
	v_mul_f16_e32 v138, 0x2fb7, v116
	v_add_f16_e32 v74, v77, v74
	v_fmamk_f16 v77, v73, 0xbbf1, v134
	v_add_f16_e32 v78, v95, v78
	v_sub_f16_e32 v139, v112, v107
	v_add_f16_e32 v95, v106, v114
	v_fmamk_f16 v114, v66, 0xbbf1, v138
	v_mul_f16_e32 v140, 0x388b, v117
	v_mul_f16_e32 v142, 0xb94e, v123
	v_add_f16_e32 v74, v77, v74
	v_add_f16_e32 v77, v59, v65
	v_mul_f16_e32 v141, 0x3bf1, v139
	v_add_f16_e32 v95, v114, v95
	v_fmamk_f16 v114, v67, 0x3a95, v140
	v_mul_f16_e32 v143, 0xbbc4, v119
	v_fmamk_f16 v145, v70, 0xb9fd, v142
	v_mul_f16_e32 v146, 0x3bf1, v126
	v_fmamk_f16 v144, v77, 0x2fb7, v141
	v_add_f16_e32 v95, v114, v95
	v_fmamk_f16 v114, v60, 0xb3a8, v143
	v_mul_f16_e32 v147, 0x3b15, v121
	v_add_f16_e32 v145, v57, v145
	v_fmamk_f16 v148, v71, 0x2fb7, v146
	v_mul_f16_e32 v149, 0xba95, v128
	v_add_f16_e32 v95, v114, v95
	v_fmamk_f16 v114, v68, 0xb770, v147
	v_add_f16_e32 v78, v144, v78
	v_add_f16_e32 v144, v148, v145
	v_fmamk_f16 v145, v72, 0x388b, v149
	v_mul_f16_e32 v148, 0x33a8, v131
	v_add_f16_e32 v95, v114, v95
	v_mul_f16_e32 v156, 0xbb7b, v123
	v_mul_f16_e32 v160, 0x394e, v126
	v_add_f16_e32 v114, v145, v144
	v_fmamk_f16 v144, v75, 0xbbc4, v148
	v_mul_f16_e32 v145, 0x3770, v135
	v_fmamk_f16 v159, v70, 0xb5ac, v156
	v_mul_f16_e32 v150, 0xb5ac, v132
	v_mul_f16_e32 v151, 0xb5ac, v115
	v_add_f16_e32 v114, v144, v114
	v_fmamk_f16 v144, v76, 0x3b15, v145
	v_add_f16_e32 v159, v57, v159
	v_fmamk_f16 v162, v71, 0xb9fd, v160
	v_mul_f16_e32 v163, 0x3770, v128
	v_fmamk_f16 v152, v73, 0x3b7b, v150
	v_add_f16_e32 v114, v144, v114
	v_mul_f16_e32 v144, 0xbb7b, v139
	v_fmamk_f16 v153, v69, 0x3b7b, v151
	v_mul_f16_e32 v154, 0xb9fd, v116
	v_add_f16_e32 v95, v152, v95
	v_mul_f16_e32 v155, 0x3b15, v117
	v_fmamk_f16 v158, v77, 0xb5ac, v144
	v_add_f16_e32 v152, v106, v153
	v_fmamk_f16 v153, v66, 0xb94e, v154
	v_mul_f16_e32 v165, 0x33a8, v135
	v_mul_f16_e32 v157, 0x2fb7, v119
	v_add_f16_e32 v114, v158, v114
	v_add_f16_e32 v158, v162, v159
	v_fmamk_f16 v159, v72, 0x3b15, v163
	v_mul_f16_e32 v162, 0xbbf1, v131
	v_add_f16_e32 v152, v153, v152
	v_fmamk_f16 v153, v67, 0xb770, v155
	v_mul_f16_e32 v170, 0xbbf1, v123
	;; [unrolled: 3-line block ×3, first 2 shown]
	v_add_f16_e32 v152, v153, v152
	v_fmamk_f16 v153, v60, 0x3bf1, v157
	v_fmamk_f16 v173, v70, 0x2fb7, v170
	v_add_f16_e32 v158, v159, v158
	v_fmamk_f16 v159, v76, 0xbbc4, v165
	v_mul_f16_e32 v174, 0xb3a8, v126
	v_add_f16_e32 v152, v153, v152
	v_fmamk_f16 v153, v68, 0xb3a8, v161
	v_add_f16_e32 v173, v57, v173
	v_add_f16_e32 v158, v159, v158
	v_mul_f16_e32 v159, 0x3a95, v139
	v_fmamk_f16 v176, v71, 0xbbc4, v174
	v_mul_f16_e32 v177, 0x3b7b, v128
	v_add_f16_e32 v152, v153, v152
	v_mul_f16_e32 v153, 0x388b, v132
	v_fmamk_f16 v172, v77, 0x388b, v159
	v_mul_f16_e32 v164, 0x2fb7, v115
	v_mul_f16_e32 v168, 0xbbc4, v116
	;; [unrolled: 1-line block ×3, first 2 shown]
	v_fmamk_f16 v166, v73, 0xba95, v153
	v_add_f16_e32 v158, v172, v158
	v_add_f16_e32 v172, v176, v173
	v_fmamk_f16 v173, v72, 0xb5ac, v177
	v_mul_f16_e32 v176, 0x3770, v131
	v_fmamk_f16 v167, v69, 0x3bf1, v164
	v_add_f16_e32 v152, v166, v152
	v_mul_f16_e32 v169, 0xb5ac, v117
	v_add_f16_e32 v172, v173, v172
	v_fmamk_f16 v173, v75, 0x3b15, v176
	v_add_f16_e32 v166, v106, v167
	v_fmamk_f16 v167, v66, 0x33a8, v168
	v_mul_f16_e32 v171, 0x3b15, v119
	v_mul_f16_e32 v175, 0x388b, v121
	v_add_f16_e32 v172, v173, v172
	v_fmamk_f16 v173, v76, 0x388b, v179
	v_add_f16_e32 v166, v167, v166
	v_fmamk_f16 v167, v67, 0xbb7b, v169
	v_mul_f16_e32 v187, 0xbb7b, v126
	v_mul_f16_e32 v190, 0xb3a8, v128
	v_add_f16_e32 v172, v173, v172
	v_mul_f16_e32 v173, 0xba95, v123
	v_add_f16_e32 v166, v167, v166
	v_fmamk_f16 v167, v60, 0xb770, v171
	v_fmamk_f16 v189, v71, 0xb5ac, v187
	v_mul_f16_e32 v192, 0x394e, v131
	v_fmamk_f16 v186, v70, 0x388b, v173
	v_add_f16_e32 v58, v58, v57
	v_add_f16_e32 v166, v167, v166
	v_fmamk_f16 v167, v68, 0x3a95, v175
	v_add_f16_e32 v109, v109, v106
	v_add_f16_e32 v186, v57, v186
	v_mul_f16_e32 v181, 0xb5ac, v116
	v_mul_f16_e32 v185, 0xb94e, v139
	v_add_f16_e32 v166, v167, v166
	v_mul_f16_e32 v167, 0x388b, v115
	v_add_f16_e32 v186, v189, v186
	v_fmamk_f16 v189, v72, 0xbbc4, v190
	v_mul_f16_e32 v115, 0x3b15, v115
	v_mul_f16_e32 v193, 0x3bf1, v135
	v_fmamk_f16 v180, v69, 0x3a95, v167
	v_mul_f16_e32 v116, 0x388b, v116
	v_add_f16_e32 v186, v189, v186
	v_fmamk_f16 v189, v75, 0xb9fd, v192
	v_fmamk_f16 v194, v69, 0x3770, v115
	v_add_f16_e32 v58, v63, v58
	v_add_f16_e32 v109, v111, v109
	v_add_f16_e32 v180, v106, v180
	v_fmamk_f16 v183, v66, 0x3b7b, v181
	v_mul_f16_e32 v184, 0xbbc4, v117
	v_fmamk_f16 v191, v77, 0xb9fd, v185
	v_add_f16_e32 v186, v189, v186
	v_fmamk_f16 v189, v76, 0x2fb7, v193
	v_add_f16_e32 v194, v106, v194
	v_fmamk_f16 v196, v66, 0x3a95, v116
	v_mul_f16_e32 v117, 0x2fb7, v117
	v_add_f16_e32 v58, v64, v58
	v_add_f16_e32 v109, v113, v109
	;; [unrolled: 1-line block ×3, first 2 shown]
	v_mul_f16_e32 v183, 0xb9fd, v119
	v_add_f16_e32 v172, v191, v172
	v_add_f16_e32 v186, v189, v186
	;; [unrolled: 1-line block ×3, first 2 shown]
	v_fmamk_f16 v191, v67, 0x3bf1, v117
	v_mul_f16_e32 v119, 0xb5ac, v119
	v_add_f16_e32 v58, v62, v58
	v_add_f16_e32 v108, v108, v109
	v_mul_f16_e32 v109, 0xb9fd, v121
	v_add_f16_e32 v63, v191, v189
	v_fmamk_f16 v111, v60, 0x3b7b, v119
	v_add_f16_e32 v58, v61, v58
	v_add_f16_e32 v108, v110, v108
	v_fmamk_f16 v113, v68, 0x394e, v109
	v_mul_f16_e32 v194, 0x3770, v139
	v_add_f16_e32 v63, v111, v63
	v_add_f16_e32 v58, v65, v58
	;; [unrolled: 1-line block ×3, first 2 shown]
	v_fmac_f16_e32 v137, 0xb94e, v69
	v_fmamk_f16 v64, v77, 0x3b15, v194
	v_fmac_f16_e32 v151, 0xbb7b, v69
	v_add_f16_e32 v58, v59, v58
	v_add_f16_e32 v59, v113, v63
	v_add_f16_e32 v63, v107, v65
	v_fmac_f16_e32 v138, 0x3bf1, v66
	v_fmac_f16_e32 v154, 0x394e, v66
	v_add_f16_e32 v29, v29, v58
	v_fmac_f16_e32 v140, 0xba95, v67
	v_add_f16_e32 v63, v101, v63
	v_mul_f16_e32 v101, 0xbbc4, v132
	v_fmac_f16_e32 v155, 0x3770, v67
	v_add_f16_e32 v29, v30, v29
	v_mul_f16_e32 v123, 0xb770, v123
	v_add_f16_e32 v63, v100, v63
	v_fmamk_f16 v100, v73, 0x33a8, v101
	v_fmac_f16_e32 v143, 0x33a8, v60
	v_add_f16_e32 v29, v31, v29
	v_fmac_f16_e32 v157, 0xbbf1, v60
	v_add_f16_e32 v31, v99, v63
	v_add_f16_e32 v63, v64, v186
	v_fma_f16 v64, v71, 0x3b15, -v127
	v_add_f16_e32 v29, v32, v29
	v_add_f16_e32 v32, v100, v59
	;; [unrolled: 1-line block ×3, first 2 shown]
	v_fma_f16 v59, v70, 0xbbc4, -v125
	v_fma_f16 v98, v71, 0x2fb7, -v146
	v_add_f16_e32 v29, v96, v29
	v_add_f16_e32 v96, v106, v137
	;; [unrolled: 1-line block ×3, first 2 shown]
	v_fma_f16 v97, v70, 0xb9fd, -v142
	v_add_f16_e32 v59, v57, v59
	v_add_f16_e32 v99, v106, v151
	;; [unrolled: 1-line block ×3, first 2 shown]
	v_fmamk_f16 v111, v70, 0x3b15, v123
	v_add_f16_e32 v97, v57, v97
	v_add_f16_e32 v59, v64, v59
	v_fma_f16 v64, v72, 0xb9fd, -v130
	v_add_f16_e32 v99, v154, v99
	v_add_f16_e32 v96, v140, v96
	;; [unrolled: 1-line block ×3, first 2 shown]
	v_fma_f16 v98, v72, 0x388b, -v149
	v_add_f16_e32 v59, v64, v59
	v_fma_f16 v64, v75, 0x388b, -v133
	v_add_f16_e32 v99, v155, v99
	v_mul_f16_e32 v62, 0xba95, v126
	v_add_f16_e32 v97, v98, v97
	v_fma_f16 v98, v75, 0xbbc4, -v148
	v_add_f16_e32 v59, v64, v59
	v_fma_f16 v64, v76, 0xb5ac, -v136
	v_add_f16_e32 v96, v143, v96
	v_fmac_f16_e32 v147, 0x3770, v68
	v_add_f16_e32 v97, v98, v97
	v_fma_f16 v98, v76, 0x3b15, -v145
	v_add_f16_e32 v99, v157, v99
	v_fmac_f16_e32 v161, 0x33a8, v68
	v_mul_f16_e32 v178, 0xb9fd, v132
	v_add_f16_e32 v111, v57, v111
	v_fmamk_f16 v61, v71, 0x388b, v62
	v_mul_f16_e32 v110, 0xbbf1, v128
	v_add_f16_e32 v59, v64, v59
	v_fma_f16 v64, v77, 0x2fb7, -v141
	v_add_f16_e32 v96, v147, v96
	v_fmac_f16_e32 v150, 0xbb7b, v73
	v_add_f16_e32 v97, v98, v97
	v_fma_f16 v98, v77, 0xb5ac, -v144
	v_add_f16_e32 v99, v161, v99
	v_fmac_f16_e32 v153, 0x3a95, v73
	v_fmamk_f16 v182, v73, 0x394e, v178
	v_add_f16_e32 v61, v61, v111
	v_fmamk_f16 v108, v72, 0x2fb7, v110
	v_add_f16_e32 v59, v64, v59
	v_add_f16_e32 v64, v150, v96
	v_fma_f16 v96, v70, 0xb5ac, -v156
	v_add_f16_e32 v97, v98, v97
	v_add_f16_e32 v98, v153, v99
	v_fma_f16 v99, v70, 0x2fb7, -v170
	v_fmac_f16_e32 v167, 0xba95, v69
	v_add_f16_e32 v166, v182, v166
	v_fmamk_f16 v182, v67, 0x33a8, v184
	v_add_f16_e32 v61, v108, v61
	v_add_f16_e32 v96, v57, v96
	v_fma_f16 v100, v71, 0xb9fd, -v160
	v_add_f16_e32 v99, v57, v99
	v_fma_f16 v107, v71, 0xbbc4, -v174
	v_add_f16_e32 v108, v106, v167
	v_fmac_f16_e32 v181, 0xbb7b, v66
	v_mul_f16_e32 v111, 0xbb7b, v131
	v_add_f16_e32 v180, v182, v180
	v_fmamk_f16 v182, v60, 0xb94e, v183
	v_mul_f16_e32 v188, 0x2fb7, v121
	v_add_f16_e32 v96, v100, v96
	v_fma_f16 v100, v72, 0x3b15, -v163
	v_add_f16_e32 v99, v107, v99
	v_fma_f16 v107, v72, 0xb5ac, -v177
	v_add_f16_e32 v108, v181, v108
	v_fmac_f16_e32 v184, 0xb3a8, v67
	v_fmamk_f16 v65, v75, 0xb5ac, v111
	v_mul_f16_e32 v58, 0xb94e, v135
	v_add_f16_e32 v180, v182, v180
	v_fmamk_f16 v182, v68, 0xbbf1, v188
	v_add_f16_e32 v96, v100, v96
	v_fma_f16 v100, v75, 0x2fb7, -v162
	v_add_f16_e32 v99, v107, v99
	v_fma_f16 v107, v75, 0x3b15, -v176
	v_add_f16_e32 v108, v184, v108
	v_fmac_f16_e32 v183, 0x394e, v60
	v_add_f16_e32 v61, v65, v61
	v_fmamk_f16 v30, v76, 0xb9fd, v58
	v_mul_f16_e32 v65, 0xb3a8, v139
	v_add_f16_e32 v180, v182, v180
	v_mul_f16_e32 v182, 0x3b15, v132
	v_add_f16_e32 v96, v100, v96
	v_fma_f16 v100, v76, 0xbbc4, -v165
	v_add_f16_e32 v99, v107, v99
	v_fma_f16 v107, v76, 0x388b, -v179
	v_add_f16_e32 v108, v183, v108
	v_fmac_f16_e32 v188, 0x3bf1, v68
	v_add_f16_e32 v30, v30, v61
	v_fmamk_f16 v61, v77, 0xbbc4, v65
	v_fmac_f16_e32 v118, 0xb3a8, v69
	v_fmamk_f16 v195, v73, 0xb770, v182
	v_add_f16_e32 v96, v100, v96
	v_fma_f16 v100, v77, 0x388b, -v159
	v_fmac_f16_e32 v164, 0xbbf1, v69
	v_add_f16_e32 v99, v107, v99
	v_fma_f16 v107, v77, 0xb9fd, -v185
	v_add_f16_e32 v108, v188, v108
	v_fmac_f16_e32 v182, 0x3770, v73
	v_fma_f16 v112, v70, 0x388b, -v173
	v_fmac_f16_e32 v115, 0xb770, v69
	v_fma_f16 v70, v70, 0x3b15, -v123
	v_add_f16_e32 v30, v61, v30
	v_add_f16_e32 v61, v106, v118
	v_fmac_f16_e32 v120, 0x3770, v66
	v_add_f16_e32 v96, v100, v96
	v_add_f16_e32 v100, v106, v164
	v_fmac_f16_e32 v168, 0xb3a8, v66
	v_add_f16_e32 v99, v107, v99
	v_add_f16_e32 v69, v182, v108
	v_add_f16_e32 v107, v57, v112
	v_fma_f16 v108, v71, 0xb5ac, -v187
	v_add_f16_e32 v106, v106, v115
	v_fmac_f16_e32 v116, 0xba95, v66
	v_add_f16_e32 v57, v57, v70
	v_fma_f16 v62, v71, 0x388b, -v62
	v_add_f16_e32 v61, v120, v61
	v_fmac_f16_e32 v122, 0xb94e, v67
	v_add_f16_e32 v100, v168, v100
	v_fmac_f16_e32 v169, 0x3b7b, v67
	v_add_f16_e32 v66, v108, v107
	v_fma_f16 v70, v72, 0xbbc4, -v190
	v_add_f16_e32 v71, v116, v106
	v_fmac_f16_e32 v117, 0xbbf1, v67
	v_add_f16_e32 v57, v62, v57
	v_fma_f16 v62, v72, 0x2fb7, -v110
	v_add_f16_e32 v61, v122, v61
	v_fmac_f16_e32 v124, 0x3a95, v60
	v_add_f16_e32 v100, v169, v100
	v_fmac_f16_e32 v171, 0x3770, v60
	v_add_f16_e32 v66, v70, v66
	;; [unrolled: 10-line block ×3, first 2 shown]
	v_fma_f16 v66, v76, 0x2fb7, -v193
	v_add_f16_e32 v67, v119, v70
	v_fmac_f16_e32 v109, 0xb94e, v68
	v_add_f16_e32 v57, v60, v57
	v_fma_f16 v58, v76, 0xb9fd, -v58
	v_add_f16_e32 v180, v195, v180
	v_add_f16_e32 v61, v129, v61
	v_fmac_f16_e32 v134, 0x3bf1, v73
	v_add_f16_e32 v100, v175, v100
	v_fmac_f16_e32 v178, 0xb94e, v73
	v_add_f16_e32 v60, v66, v62
	v_fma_f16 v62, v77, 0x3b15, -v194
	v_add_f16_e32 v66, v109, v67
	v_fmac_f16_e32 v101, 0xb3a8, v73
	v_add_f16_e32 v57, v58, v57
	v_fma_f16 v58, v77, 0xbbc4, -v65
	v_lshlrev_b32_e32 v65, 2, v94
	v_pack_b32_f16 v30, v30, v32
	v_pack_b32_f16 v29, v29, v31
	v_add_f16_e32 v61, v134, v61
	v_pack_b32_f16 v31, v172, v166
	v_pack_b32_f16 v32, v63, v180
	v_add_f16_e32 v100, v178, v100
	v_add_f16_e32 v60, v62, v60
	;; [unrolled: 1-line block ×4, first 2 shown]
	ds_write2_b32 v65, v29, v30 offset1:1
	ds_write2_b32 v65, v32, v31 offset0:2 offset1:3
	v_pack_b32_f16 v29, v114, v95
	v_pack_b32_f16 v30, v158, v152
	;; [unrolled: 1-line block ×9, first 2 shown]
	ds_write2_b32 v65, v30, v29 offset0:4 offset1:5
	ds_write2_b32 v65, v32, v31 offset0:6 offset1:7
	;; [unrolled: 1-line block ×4, first 2 shown]
	ds_write_b32 v65, v57 offset:48
.LBB0_13:
	s_or_b32 exec_lo, exec_lo, s0
	v_add_nc_u32_e32 v60, 0x200, v79
	s_waitcnt lgkmcnt(0)
	s_barrier
	v_add_nc_u32_e32 v57, 0x800, v79
	buffer_gl0_inv
	v_add_nc_u32_e32 v30, 0xa00, v79
	ds_read2_b32 v[62:63], v60 offset0:54 offset1:145
	v_add_nc_u32_e32 v59, 0x1000, v79
	ds_read2_b32 v[64:65], v57 offset0:34 offset1:125
	;; [unrolled: 2-line block ×7, first 2 shown]
	ds_read2_b32 v[76:77], v61 offset0:142 offset1:233
	ds_read2_b32 v[94:95], v31 offset0:48 offset1:139
	ds_read_b32 v78, v79 offset:7280
	ds_read2_b32 v[96:97], v79 offset1:91
	s_waitcnt lgkmcnt(0)
	s_barrier
	buffer_gl0_inv
	s_mov_b32 s4, 0xa36ec936
	s_mov_b32 s5, 0x3f4125a4
	v_lshrrev_b32_e32 v98, 16, v63
	v_lshrrev_b32_e32 v99, 16, v64
	v_mul_f16_sdwa v122, v9, v64 dst_sel:DWORD dst_unused:UNUSED_PAD src0_sel:WORD_1 src1_sel:DWORD
	v_lshrrev_b32_e32 v100, 16, v67
	v_mul_f16_sdwa v116, v8, v98 dst_sel:DWORD dst_unused:UNUSED_PAD src0_sel:WORD_1 src1_sel:DWORD
	;; [unrolled: 2-line block ×4, first 2 shown]
	v_lshrrev_b32_e32 v107, 16, v72
	v_fmac_f16_e32 v116, v8, v63
	v_mul_f16_sdwa v63, v8, v63 dst_sel:DWORD dst_unused:UNUSED_PAD src0_sel:WORD_1 src1_sel:DWORD
	v_lshrrev_b32_e32 v108, 16, v74
	v_lshrrev_b32_e32 v109, 16, v65
	v_mul_f16_sdwa v124, v10, v67 dst_sel:DWORD dst_unused:UNUSED_PAD src0_sel:WORD_1 src1_sel:DWORD
	v_fmac_f16_e32 v121, v9, v64
	v_fma_f16 v8, v8, v98, -v63
	v_fma_f16 v9, v9, v99, -v122
	v_fmac_f16_e32 v123, v10, v67
	v_mul_f16_sdwa v63, v11, v101 dst_sel:DWORD dst_unused:UNUSED_PAD src0_sel:WORD_1 src1_sel:DWORD
	v_mul_f16_sdwa v64, v11, v68 dst_sel:DWORD dst_unused:UNUSED_PAD src0_sel:WORD_1 src1_sel:DWORD
	;; [unrolled: 1-line block ×5, first 2 shown]
	v_lshrrev_b32_e32 v110, 16, v76
	v_lshrrev_b32_e32 v111, 16, v69
	;; [unrolled: 1-line block ×3, first 2 shown]
	v_fmac_f16_e32 v63, v11, v68
	v_fma_f16 v11, v11, v101, -v64
	v_fmac_f16_e32 v67, v37, v71
	v_fma_f16 v37, v37, v106, -v98
	v_fmac_f16_e32 v99, v38, v72
	v_mul_f16_sdwa v64, v38, v72 dst_sel:DWORD dst_unused:UNUSED_PAD src0_sel:WORD_1 src1_sel:DWORD
	v_mul_f16_sdwa v68, v4, v108 dst_sel:DWORD dst_unused:UNUSED_PAD src0_sel:WORD_1 src1_sel:DWORD
	;; [unrolled: 1-line block ×5, first 2 shown]
	v_lshrrev_b32_e32 v113, 16, v73
	v_lshrrev_b32_e32 v114, 16, v75
	v_fma_f16 v38, v38, v107, -v64
	v_fmac_f16_e32 v68, v4, v74
	v_fma_f16 v4, v4, v108, -v71
	v_fmac_f16_e32 v72, v5, v65
	v_fma_f16 v5, v5, v109, -v98
	v_mul_f16_sdwa v64, v6, v110 dst_sel:DWORD dst_unused:UNUSED_PAD src0_sel:WORD_1 src1_sel:DWORD
	v_mul_f16_sdwa v65, v6, v76 dst_sel:DWORD dst_unused:UNUSED_PAD src0_sel:WORD_1 src1_sel:DWORD
	;; [unrolled: 1-line block ×5, first 2 shown]
	v_lshrrev_b32_e32 v115, 16, v66
	v_lshrrev_b32_e32 v117, 16, v77
	;; [unrolled: 1-line block ×3, first 2 shown]
	v_fmac_f16_e32 v64, v6, v76
	v_fma_f16 v6, v6, v110, -v65
	v_fmac_f16_e32 v71, v7, v69
	v_fma_f16 v7, v7, v111, -v74
	v_fmac_f16_e32 v98, v35, v94
	v_mul_f16_sdwa v65, v35, v94 dst_sel:DWORD dst_unused:UNUSED_PAD src0_sel:WORD_1 src1_sel:DWORD
	v_mul_f16_sdwa v69, v36, v113 dst_sel:DWORD dst_unused:UNUSED_PAD src0_sel:WORD_1 src1_sel:DWORD
	;; [unrolled: 1-line block ×5, first 2 shown]
	v_lshrrev_b32_e32 v119, 16, v95
	v_lshrrev_b32_e32 v120, 16, v78
	v_fma_f16 v35, v35, v112, -v65
	v_fmac_f16_e32 v69, v36, v73
	v_fma_f16 v36, v36, v113, -v74
	v_fmac_f16_e32 v76, v0, v75
	v_fma_f16 v0, v0, v114, -v94
	v_mul_f16_sdwa v65, v1, v115 dst_sel:DWORD dst_unused:UNUSED_PAD src0_sel:WORD_1 src1_sel:DWORD
	v_mul_f16_sdwa v73, v1, v66 dst_sel:DWORD dst_unused:UNUSED_PAD src0_sel:WORD_1 src1_sel:DWORD
	;; [unrolled: 1-line block ×5, first 2 shown]
	v_fmac_f16_e32 v65, v1, v66
	v_fma_f16 v1, v1, v115, -v73
	v_fmac_f16_e32 v74, v2, v77
	v_fma_f16 v2, v2, v117, -v75
	v_fmac_f16_e32 v94, v3, v70
	v_mul_f16_sdwa v66, v3, v70 dst_sel:DWORD dst_unused:UNUSED_PAD src0_sel:WORD_1 src1_sel:DWORD
	v_mul_f16_sdwa v70, v33, v119 dst_sel:DWORD dst_unused:UNUSED_PAD src0_sel:WORD_1 src1_sel:DWORD
	;; [unrolled: 1-line block ×4, first 2 shown]
	v_fma_f16 v10, v10, v100, -v124
	v_mul_f16_sdwa v77, v34, v78 dst_sel:DWORD dst_unused:UNUSED_PAD src0_sel:WORD_1 src1_sel:DWORD
	v_fma_f16 v3, v3, v118, -v66
	v_fmac_f16_e32 v70, v33, v95
	v_fma_f16 v33, v33, v119, -v73
	v_fmac_f16_e32 v75, v34, v78
	v_add_f16_e32 v66, v116, v99
	v_add_f16_e32 v73, v8, v38
	v_sub_f16_e32 v8, v8, v38
	v_add_f16_e32 v38, v121, v67
	v_add_f16_e32 v78, v9, v37
	v_fma_f16 v34, v34, v120, -v77
	v_sub_f16_e32 v77, v116, v99
	v_sub_f16_e32 v67, v121, v67
	;; [unrolled: 1-line block ×3, first 2 shown]
	v_add_f16_e32 v37, v123, v63
	v_add_f16_e32 v95, v10, v11
	v_sub_f16_e32 v63, v63, v123
	v_sub_f16_e32 v10, v11, v10
	v_add_f16_e32 v11, v38, v66
	v_add_f16_e32 v99, v78, v73
	v_sub_f16_e32 v100, v38, v66
	v_sub_f16_e32 v101, v78, v73
	;; [unrolled: 1-line block ×6, first 2 shown]
	v_add_f16_e32 v106, v63, v67
	v_add_f16_e32 v107, v10, v9
	v_sub_f16_e32 v108, v63, v67
	v_sub_f16_e32 v109, v10, v9
	;; [unrolled: 1-line block ×3, first 2 shown]
	v_add_f16_e32 v11, v37, v11
	v_add_f16_e32 v37, v95, v99
	v_sub_f16_e32 v9, v9, v8
	v_sub_f16_e32 v63, v77, v63
	;; [unrolled: 1-line block ×3, first 2 shown]
	v_add_f16_e32 v77, v106, v77
	v_add_f16_e32 v8, v107, v8
	;; [unrolled: 1-line block ×3, first 2 shown]
	v_add_f16_sdwa v96, v96, v37 dst_sel:DWORD dst_unused:UNUSED_PAD src0_sel:WORD_1 src1_sel:DWORD
	v_mul_f16_e32 v66, 0x3a52, v66
	v_mul_f16_e32 v73, 0x3a52, v73
	;; [unrolled: 1-line block ×8, first 2 shown]
	v_fmamk_f16 v11, v11, 0xbcab, v95
	v_fmamk_f16 v37, v37, 0xbcab, v96
	;; [unrolled: 1-line block ×4, first 2 shown]
	v_fma_f16 v99, v100, 0x39e0, -v99
	v_fma_f16 v106, v101, 0x39e0, -v106
	;; [unrolled: 1-line block ×4, first 2 shown]
	v_fmamk_f16 v100, v63, 0xb574, v107
	v_fmamk_f16 v101, v10, 0xb574, v108
	v_fma_f16 v63, v63, 0x3574, -v109
	v_fma_f16 v10, v10, 0x3574, -v110
	;; [unrolled: 1-line block ×4, first 2 shown]
	v_add_f16_e32 v38, v38, v11
	v_add_f16_e32 v78, v78, v37
	;; [unrolled: 1-line block ×6, first 2 shown]
	v_fmac_f16_e32 v100, 0xb70e, v77
	v_fmac_f16_e32 v101, 0xb70e, v8
	;; [unrolled: 1-line block ×6, first 2 shown]
	v_add_f16_e32 v8, v101, v38
	v_sub_f16_e32 v66, v78, v100
	v_add_f16_e32 v73, v10, v11
	v_sub_f16_e32 v77, v37, v63
	v_sub_f16_e32 v10, v11, v10
	v_add_f16_e32 v11, v63, v37
	v_sub_f16_e32 v37, v38, v101
	v_add_f16_e32 v38, v100, v78
	v_add_f16_e32 v63, v68, v69
	;; [unrolled: 1-line block ×3, first 2 shown]
	v_sub_f16_e32 v68, v68, v69
	v_sub_f16_e32 v4, v4, v36
	v_add_f16_e32 v36, v72, v98
	v_add_f16_e32 v69, v5, v35
	v_sub_f16_e32 v72, v72, v98
	v_sub_f16_e32 v5, v5, v35
	v_add_f16_e32 v35, v64, v71
	v_add_f16_e32 v98, v6, v7
	;; [unrolled: 4-line block ×3, first 2 shown]
	v_sub_f16_e32 v107, v99, v9
	v_add_f16_e32 v108, v67, v106
	v_add_f16_e32 v9, v9, v99
	v_sub_f16_e32 v67, v106, v67
	v_sub_f16_e32 v99, v36, v63
	;; [unrolled: 1-line block ×7, first 2 shown]
	v_add_f16_e32 v101, v64, v72
	v_add_f16_e32 v106, v6, v5
	v_sub_f16_e32 v109, v64, v72
	v_sub_f16_e32 v110, v6, v5
	;; [unrolled: 1-line block ×3, first 2 shown]
	v_add_f16_e32 v7, v35, v7
	v_add_f16_e32 v35, v98, v71
	v_sub_f16_e32 v5, v5, v4
	v_sub_f16_e32 v64, v68, v64
	;; [unrolled: 1-line block ×3, first 2 shown]
	v_add_f16_e32 v68, v101, v68
	v_add_f16_e32 v4, v106, v4
	;; [unrolled: 1-line block ×3, first 2 shown]
	v_add_f16_sdwa v97, v97, v35 dst_sel:DWORD dst_unused:UNUSED_PAD src0_sel:WORD_1 src1_sel:DWORD
	v_mul_f16_e32 v63, 0x3a52, v63
	v_mul_f16_e32 v78, 0x3a52, v78
	;; [unrolled: 1-line block ×8, first 2 shown]
	v_fmamk_f16 v7, v7, 0xbcab, v71
	v_fmamk_f16 v35, v35, 0xbcab, v97
	;; [unrolled: 1-line block ×4, first 2 shown]
	v_fma_f16 v98, v99, 0x39e0, -v98
	v_fma_f16 v101, v100, 0x39e0, -v101
	;; [unrolled: 1-line block ×4, first 2 shown]
	v_fmamk_f16 v99, v64, 0xb574, v106
	v_fmamk_f16 v100, v6, 0xb574, v109
	v_fma_f16 v64, v64, 0x3574, -v110
	v_fma_f16 v6, v6, 0x3574, -v111
	;; [unrolled: 1-line block ×4, first 2 shown]
	v_add_f16_e32 v36, v36, v7
	v_add_f16_e32 v69, v69, v35
	;; [unrolled: 1-line block ×6, first 2 shown]
	v_fmac_f16_e32 v99, 0xb70e, v68
	v_fmac_f16_e32 v100, 0xb70e, v4
	v_fmac_f16_e32 v6, 0xb70e, v4
	v_fmac_f16_e32 v64, 0xb70e, v68
	v_fmac_f16_e32 v72, 0xb70e, v68
	v_fmac_f16_e32 v5, 0xb70e, v4
	v_add_f16_e32 v4, v100, v36
	v_sub_f16_e32 v63, v69, v99
	v_add_f16_e32 v68, v6, v7
	v_sub_f16_e32 v78, v35, v64
	v_sub_f16_e32 v6, v7, v6
	v_add_f16_e32 v7, v64, v35
	v_sub_f16_e32 v35, v36, v100
	v_add_f16_e32 v36, v99, v69
	v_add_f16_e32 v64, v76, v75
	;; [unrolled: 1-line block ×3, first 2 shown]
	v_sub_f16_e32 v75, v76, v75
	v_sub_f16_e32 v0, v0, v34
	v_add_f16_e32 v34, v65, v70
	v_add_f16_e32 v76, v1, v33
	v_sub_f16_e32 v65, v65, v70
	v_sub_f16_e32 v1, v1, v33
	v_add_f16_e32 v33, v74, v94
	v_add_f16_e32 v70, v2, v3
	;; [unrolled: 4-line block ×3, first 2 shown]
	v_sub_f16_e32 v106, v98, v5
	v_add_f16_e32 v109, v72, v101
	v_add_f16_e32 v5, v5, v98
	v_sub_f16_e32 v72, v101, v72
	v_sub_f16_e32 v98, v34, v64
	;; [unrolled: 1-line block ×7, first 2 shown]
	v_add_f16_e32 v100, v74, v65
	v_add_f16_e32 v101, v2, v1
	v_sub_f16_e32 v110, v74, v65
	v_sub_f16_e32 v111, v2, v1
	;; [unrolled: 1-line block ×3, first 2 shown]
	v_add_f16_e32 v3, v33, v3
	v_add_f16_e32 v33, v70, v94
	v_sub_f16_e32 v1, v1, v0
	v_sub_f16_e32 v74, v75, v74
	;; [unrolled: 1-line block ×3, first 2 shown]
	v_add_f16_e32 v70, v100, v75
	v_add_f16_e32 v0, v101, v0
	;; [unrolled: 1-line block ×3, first 2 shown]
	v_add_f16_sdwa v62, v62, v33 dst_sel:DWORD dst_unused:UNUSED_PAD src0_sel:WORD_1 src1_sel:DWORD
	v_mul_f16_e32 v64, 0x3a52, v64
	v_mul_f16_e32 v69, 0x3a52, v69
	;; [unrolled: 1-line block ×8, first 2 shown]
	v_fmamk_f16 v3, v3, 0xbcab, v75
	v_fmamk_f16 v33, v33, 0xbcab, v62
	;; [unrolled: 1-line block ×4, first 2 shown]
	v_fma_f16 v94, v98, 0x39e0, -v94
	v_fma_f16 v100, v99, 0x39e0, -v100
	;; [unrolled: 1-line block ×4, first 2 shown]
	v_fmamk_f16 v98, v74, 0xb574, v101
	v_fmamk_f16 v99, v2, 0xb574, v110
	v_fma_f16 v74, v74, 0x3574, -v111
	v_fma_f16 v2, v2, 0x3574, -v112
	;; [unrolled: 1-line block ×3, first 2 shown]
	v_add_f16_e32 v34, v34, v3
	v_add_f16_e32 v76, v76, v33
	;; [unrolled: 1-line block ×6, first 2 shown]
	v_fmac_f16_e32 v2, 0xb70e, v0
	v_fmac_f16_e32 v74, 0xb70e, v70
	v_fma_f16 v1, v1, 0xbb00, -v110
	v_fmac_f16_e32 v98, 0xb70e, v70
	v_fmac_f16_e32 v65, 0xb70e, v70
	v_add_f16_e32 v69, v2, v3
	v_sub_f16_e32 v70, v33, v74
	v_sub_f16_e32 v2, v3, v2
	v_add_f16_e32 v3, v74, v33
	v_pack_b32_f16 v74, v95, v96
	v_pack_b32_f16 v8, v8, v66
	v_fmac_f16_e32 v99, 0xb70e, v0
	v_pack_b32_f16 v66, v73, v77
	v_pack_b32_f16 v73, v107, v108
	v_fmac_f16_e32 v1, 0xb70e, v0
	ds_write2_b32 v103, v74, v8 offset1:13
	ds_write2_b32 v103, v66, v73 offset0:26 offset1:39
	v_pack_b32_f16 v8, v9, v67
	v_pack_b32_f16 v9, v10, v11
	v_add_f16_e32 v0, v99, v34
	v_sub_f16_e32 v64, v76, v98
	v_pack_b32_f16 v10, v37, v38
	v_sub_f16_e32 v101, v94, v1
	v_add_f16_e32 v110, v65, v100
	v_pack_b32_f16 v11, v71, v97
	v_pack_b32_f16 v4, v4, v63
	v_add_f16_e32 v1, v1, v94
	v_sub_f16_e32 v65, v100, v65
	v_pack_b32_f16 v37, v68, v78
	v_pack_b32_f16 v38, v106, v109
	v_sub_f16_e32 v33, v34, v99
	v_add_f16_e32 v34, v98, v76
	v_pack_b32_f16 v5, v5, v72
	v_pack_b32_f16 v6, v6, v7
	ds_write2_b32 v103, v8, v9 offset0:52 offset1:65
	ds_write_b32 v103, v10 offset:312
	ds_write2_b32 v102, v11, v4 offset1:13
	ds_write2_b32 v102, v37, v38 offset0:26 offset1:39
	ds_write2_b32 v102, v5, v6 offset0:52 offset1:65
	v_pack_b32_f16 v4, v35, v36
	v_pack_b32_f16 v5, v75, v62
	;; [unrolled: 1-line block ×8, first 2 shown]
	ds_write_b32 v102, v4 offset:312
	ds_write2_b32 v104, v5, v0 offset1:13
	ds_write2_b32 v104, v6, v7 offset0:26 offset1:39
	ds_write2_b32 v104, v1, v2 offset0:52 offset1:65
	ds_write_b32 v104, v3 offset:312
	s_waitcnt lgkmcnt(0)
	s_barrier
	buffer_gl0_inv
	ds_read2_b32 v[0:1], v60 offset0:54 offset1:145
	ds_read2_b32 v[2:3], v57 offset0:34 offset1:125
	ds_read2_b32 v[4:5], v30 offset0:88 offset1:179
	ds_read2_b32 v[6:7], v59 offset0:68 offset1:159
	ds_read2_b32 v[8:9], v32 offset0:122 offset1:213
	ds_read2_b32 v[10:11], v29 offset0:102 offset1:193
	ds_read2_b32 v[33:34], v58 offset0:108 offset1:199
	ds_read2_b32 v[35:36], v61 offset0:142 offset1:233
	ds_read2_b32 v[37:38], v31 offset0:48 offset1:139
	ds_read_b32 v64, v79 offset:7280
	ds_read2_b32 v[62:63], v79 offset1:91
	s_waitcnt lgkmcnt(0)
	s_barrier
	buffer_gl0_inv
	v_lshrrev_b32_e32 v65, 16, v1
	v_lshrrev_b32_e32 v66, 16, v2
	;; [unrolled: 1-line block ×5, first 2 shown]
	v_mul_f16_sdwa v94, v16, v65 dst_sel:DWORD dst_unused:UNUSED_PAD src0_sel:WORD_1 src1_sel:DWORD
	v_lshrrev_b32_e32 v70, 16, v10
	v_mul_f16_sdwa v99, v17, v66 dst_sel:DWORD dst_unused:UNUSED_PAD src0_sel:WORD_1 src1_sel:DWORD
	v_mul_f16_sdwa v100, v17, v2 dst_sel:DWORD dst_unused:UNUSED_PAD src0_sel:WORD_1 src1_sel:DWORD
	;; [unrolled: 1-line block ×3, first 2 shown]
	v_fmac_f16_e32 v94, v16, v1
	v_mul_f16_sdwa v1, v16, v1 dst_sel:DWORD dst_unused:UNUSED_PAD src0_sel:WORD_1 src1_sel:DWORD
	v_mul_f16_sdwa v102, v18, v5 dst_sel:DWORD dst_unused:UNUSED_PAD src0_sel:WORD_1 src1_sel:DWORD
	v_lshrrev_b32_e32 v71, 16, v33
	v_lshrrev_b32_e32 v72, 16, v3
	v_fmac_f16_e32 v99, v17, v2
	v_fma_f16 v1, v16, v65, -v1
	v_fma_f16 v2, v17, v66, -v100
	v_fmac_f16_e32 v101, v18, v5
	v_fma_f16 v5, v18, v67, -v102
	v_mul_f16_sdwa v65, v19, v68 dst_sel:DWORD dst_unused:UNUSED_PAD src0_sel:WORD_1 src1_sel:DWORD
	v_mul_f16_sdwa v66, v19, v6 dst_sel:DWORD dst_unused:UNUSED_PAD src0_sel:WORD_1 src1_sel:DWORD
	;; [unrolled: 1-line block ×5, first 2 shown]
	v_lshrrev_b32_e32 v73, 16, v35
	v_lshrrev_b32_e32 v74, 16, v7
	;; [unrolled: 1-line block ×3, first 2 shown]
	v_fmac_f16_e32 v65, v19, v6
	v_fma_f16 v6, v19, v68, -v66
	v_fmac_f16_e32 v67, v41, v9
	v_fma_f16 v9, v41, v69, -v100
	v_fmac_f16_e32 v102, v42, v10
	v_mul_f16_sdwa v10, v42, v10 dst_sel:DWORD dst_unused:UNUSED_PAD src0_sel:WORD_1 src1_sel:DWORD
	v_mul_f16_sdwa v66, v16, v71 dst_sel:DWORD dst_unused:UNUSED_PAD src0_sel:WORD_1 src1_sel:DWORD
	;; [unrolled: 1-line block ×5, first 2 shown]
	v_lshrrev_b32_e32 v76, 16, v11
	v_lshrrev_b32_e32 v77, 16, v34
	v_fma_f16 v10, v42, v70, -v10
	v_fmac_f16_e32 v66, v16, v33
	v_fma_f16 v16, v16, v71, -v68
	v_fmac_f16_e32 v69, v17, v3
	v_fma_f16 v3, v17, v72, -v100
	v_mul_f16_sdwa v17, v18, v73 dst_sel:DWORD dst_unused:UNUSED_PAD src0_sel:WORD_1 src1_sel:DWORD
	v_mul_f16_sdwa v33, v18, v35 dst_sel:DWORD dst_unused:UNUSED_PAD src0_sel:WORD_1 src1_sel:DWORD
	;; [unrolled: 1-line block ×5, first 2 shown]
	v_lshrrev_b32_e32 v78, 16, v4
	v_lshrrev_b32_e32 v95, 16, v36
	;; [unrolled: 1-line block ×3, first 2 shown]
	v_fmac_f16_e32 v17, v18, v35
	v_fma_f16 v18, v18, v73, -v33
	v_fmac_f16_e32 v68, v19, v7
	v_fma_f16 v7, v19, v74, -v70
	v_fmac_f16_e32 v71, v41, v37
	v_mul_f16_sdwa v19, v41, v37 dst_sel:DWORD dst_unused:UNUSED_PAD src0_sel:WORD_1 src1_sel:DWORD
	v_mul_f16_sdwa v33, v42, v76 dst_sel:DWORD dst_unused:UNUSED_PAD src0_sel:WORD_1 src1_sel:DWORD
	;; [unrolled: 1-line block ×5, first 2 shown]
	v_lshrrev_b32_e32 v97, 16, v38
	v_fma_f16 v19, v41, v75, -v19
	v_fmac_f16_e32 v33, v42, v11
	v_fma_f16 v11, v42, v76, -v35
	v_fmac_f16_e32 v37, v12, v34
	v_fma_f16 v12, v12, v77, -v70
	v_mul_f16_sdwa v34, v13, v78 dst_sel:DWORD dst_unused:UNUSED_PAD src0_sel:WORD_1 src1_sel:DWORD
	v_mul_f16_sdwa v35, v13, v4 dst_sel:DWORD dst_unused:UNUSED_PAD src0_sel:WORD_1 src1_sel:DWORD
	;; [unrolled: 1-line block ×5, first 2 shown]
	v_lshrrev_b32_e32 v98, 16, v64
	v_fmac_f16_e32 v34, v13, v4
	v_fma_f16 v4, v13, v78, -v35
	v_fmac_f16_e32 v41, v14, v36
	v_fma_f16 v13, v14, v95, -v42
	v_fmac_f16_e32 v70, v15, v8
	v_mul_f16_sdwa v8, v15, v8 dst_sel:DWORD dst_unused:UNUSED_PAD src0_sel:WORD_1 src1_sel:DWORD
	v_mul_f16_sdwa v14, v39, v97 dst_sel:DWORD dst_unused:UNUSED_PAD src0_sel:WORD_1 src1_sel:DWORD
	v_mul_f16_sdwa v35, v39, v38 dst_sel:DWORD dst_unused:UNUSED_PAD src0_sel:WORD_1 src1_sel:DWORD
	v_mul_f16_sdwa v42, v40, v64 dst_sel:DWORD dst_unused:UNUSED_PAD src0_sel:WORD_1 src1_sel:DWORD
	v_mul_f16_sdwa v36, v40, v98 dst_sel:DWORD dst_unused:UNUSED_PAD src0_sel:WORD_1 src1_sel:DWORD
	v_fma_f16 v8, v15, v96, -v8
	v_fmac_f16_e32 v14, v39, v38
	v_fma_f16 v15, v39, v97, -v35
	v_fma_f16 v35, v40, v98, -v42
	v_add_f16_e32 v38, v94, v102
	v_add_f16_e32 v39, v1, v10
	v_sub_f16_e32 v1, v1, v10
	v_add_f16_e32 v10, v99, v67
	v_add_f16_e32 v42, v2, v9
	v_fmac_f16_e32 v36, v40, v64
	v_sub_f16_e32 v40, v94, v102
	v_sub_f16_e32 v64, v99, v67
	;; [unrolled: 1-line block ×3, first 2 shown]
	v_add_f16_e32 v9, v101, v65
	v_add_f16_e32 v67, v5, v6
	v_sub_f16_e32 v65, v65, v101
	v_sub_f16_e32 v5, v6, v5
	v_add_f16_e32 v6, v10, v38
	v_add_f16_e32 v72, v42, v39
	v_sub_f16_e32 v73, v10, v38
	v_sub_f16_e32 v74, v42, v39
	;; [unrolled: 1-line block ×6, first 2 shown]
	v_add_f16_e32 v75, v65, v64
	v_add_f16_e32 v76, v5, v2
	v_sub_f16_e32 v77, v65, v64
	v_sub_f16_e32 v78, v5, v2
	;; [unrolled: 1-line block ×3, first 2 shown]
	v_add_f16_e32 v6, v9, v6
	v_add_f16_e32 v9, v67, v72
	v_sub_f16_e32 v2, v2, v1
	v_sub_f16_e32 v65, v40, v65
	;; [unrolled: 1-line block ×3, first 2 shown]
	v_add_f16_e32 v40, v75, v40
	v_add_f16_e32 v1, v76, v1
	;; [unrolled: 1-line block ×3, first 2 shown]
	v_add_f16_sdwa v62, v62, v9 dst_sel:DWORD dst_unused:UNUSED_PAD src0_sel:WORD_1 src1_sel:DWORD
	v_mul_f16_e32 v38, 0x3a52, v38
	v_mul_f16_e32 v39, 0x3a52, v39
	;; [unrolled: 1-line block ×8, first 2 shown]
	v_fmamk_f16 v6, v6, 0xbcab, v67
	v_fmamk_f16 v9, v9, 0xbcab, v62
	;; [unrolled: 1-line block ×4, first 2 shown]
	v_fma_f16 v72, v73, 0x39e0, -v72
	v_fma_f16 v75, v74, 0x39e0, -v75
	;; [unrolled: 1-line block ×4, first 2 shown]
	v_fmamk_f16 v73, v65, 0xb574, v76
	v_fmamk_f16 v74, v5, 0xb574, v77
	v_fma_f16 v65, v65, 0x3574, -v78
	v_fma_f16 v5, v5, 0x3574, -v94
	;; [unrolled: 1-line block ×4, first 2 shown]
	v_add_f16_e32 v10, v10, v6
	v_add_f16_e32 v42, v42, v9
	;; [unrolled: 1-line block ×6, first 2 shown]
	v_fmac_f16_e32 v73, 0xb70e, v40
	v_fmac_f16_e32 v74, 0xb70e, v1
	;; [unrolled: 1-line block ×6, first 2 shown]
	v_add_f16_e32 v1, v74, v10
	v_sub_f16_e32 v38, v42, v73
	v_add_f16_e32 v39, v5, v6
	v_sub_f16_e32 v40, v9, v65
	v_sub_f16_e32 v5, v6, v5
	v_add_f16_e32 v6, v65, v9
	v_sub_f16_e32 v9, v10, v74
	v_add_f16_e32 v10, v73, v42
	v_add_f16_e32 v42, v66, v33
	;; [unrolled: 1-line block ×3, first 2 shown]
	v_sub_f16_e32 v33, v66, v33
	v_sub_f16_e32 v11, v16, v11
	v_add_f16_e32 v16, v69, v71
	v_add_f16_e32 v66, v3, v19
	v_sub_f16_e32 v69, v69, v71
	v_sub_f16_e32 v3, v3, v19
	v_add_f16_e32 v19, v17, v68
	v_add_f16_e32 v71, v18, v7
	;; [unrolled: 4-line block ×3, first 2 shown]
	v_sub_f16_e32 v76, v72, v2
	v_add_f16_e32 v77, v64, v75
	v_add_f16_e32 v2, v2, v72
	v_sub_f16_e32 v64, v75, v64
	v_sub_f16_e32 v72, v16, v42
	;; [unrolled: 1-line block ×7, first 2 shown]
	v_add_f16_e32 v74, v17, v69
	v_add_f16_e32 v75, v7, v3
	v_sub_f16_e32 v78, v17, v69
	v_sub_f16_e32 v94, v7, v3
	;; [unrolled: 1-line block ×3, first 2 shown]
	v_add_f16_e32 v18, v19, v18
	v_add_f16_e32 v19, v71, v68
	v_sub_f16_e32 v3, v3, v11
	v_sub_f16_e32 v17, v33, v17
	;; [unrolled: 1-line block ×3, first 2 shown]
	v_add_f16_e32 v33, v74, v33
	v_add_f16_e32 v11, v75, v11
	;; [unrolled: 1-line block ×3, first 2 shown]
	v_add_f16_sdwa v63, v63, v19 dst_sel:DWORD dst_unused:UNUSED_PAD src0_sel:WORD_1 src1_sel:DWORD
	v_mul_f16_e32 v42, 0x3a52, v42
	v_mul_f16_e32 v65, 0x3a52, v65
	;; [unrolled: 1-line block ×8, first 2 shown]
	v_fmamk_f16 v18, v18, 0xbcab, v68
	v_fmamk_f16 v19, v19, 0xbcab, v63
	;; [unrolled: 1-line block ×4, first 2 shown]
	v_fma_f16 v71, v72, 0x39e0, -v71
	v_fma_f16 v74, v73, 0x39e0, -v74
	;; [unrolled: 1-line block ×4, first 2 shown]
	v_fmamk_f16 v72, v17, 0xb574, v75
	v_fmamk_f16 v73, v7, 0xb574, v78
	v_fma_f16 v17, v17, 0x3574, -v94
	v_fma_f16 v7, v7, 0x3574, -v95
	;; [unrolled: 1-line block ×3, first 2 shown]
	v_add_f16_e32 v16, v16, v18
	v_add_f16_e32 v66, v66, v19
	;; [unrolled: 1-line block ×6, first 2 shown]
	v_fmac_f16_e32 v72, 0xb70e, v33
	v_fmac_f16_e32 v7, 0xb70e, v11
	;; [unrolled: 1-line block ×3, first 2 shown]
	v_fma_f16 v3, v3, 0xbb00, -v78
	v_fmac_f16_e32 v69, 0xb70e, v33
	v_sub_f16_e32 v33, v66, v72
	v_add_f16_e32 v42, v7, v18
	v_sub_f16_e32 v65, v19, v17
	v_sub_f16_e32 v7, v18, v7
	v_add_f16_e32 v17, v17, v19
	v_add_f16_e32 v18, v72, v66
	;; [unrolled: 1-line block ×4, first 2 shown]
	v_sub_f16_e32 v36, v37, v36
	v_sub_f16_e32 v12, v12, v35
	v_add_f16_e32 v35, v34, v14
	v_add_f16_e32 v37, v4, v15
	v_fmac_f16_e32 v73, 0xb70e, v11
	v_fmac_f16_e32 v3, 0xb70e, v11
	v_sub_f16_e32 v14, v34, v14
	v_sub_f16_e32 v4, v4, v15
	v_add_f16_e32 v15, v41, v70
	v_add_f16_e32 v34, v13, v8
	v_sub_f16_e32 v41, v70, v41
	v_sub_f16_e32 v8, v8, v13
	v_add_f16_e32 v13, v35, v19
	v_add_f16_e32 v70, v37, v66
	v_add_f16_e32 v11, v73, v16
	v_sub_f16_e32 v75, v71, v3
	v_add_f16_e32 v78, v69, v74
	v_add_f16_e32 v3, v3, v71
	v_sub_f16_e32 v69, v74, v69
	v_sub_f16_e32 v16, v16, v73
	v_sub_f16_e32 v71, v35, v19
	v_sub_f16_e32 v72, v37, v66
	v_sub_f16_e32 v19, v19, v15
	v_sub_f16_e32 v66, v66, v34
	v_sub_f16_e32 v35, v15, v35
	v_sub_f16_e32 v37, v34, v37
	v_add_f16_e32 v73, v41, v14
	v_add_f16_e32 v74, v8, v4
	v_sub_f16_e32 v94, v41, v14
	v_sub_f16_e32 v95, v8, v4
	;; [unrolled: 1-line block ×3, first 2 shown]
	v_add_f16_e32 v13, v15, v13
	v_add_f16_e32 v15, v34, v70
	v_sub_f16_e32 v4, v4, v12
	v_sub_f16_e32 v41, v36, v41
	;; [unrolled: 1-line block ×3, first 2 shown]
	v_add_f16_e32 v34, v73, v36
	v_add_f16_e32 v12, v74, v12
	;; [unrolled: 1-line block ×3, first 2 shown]
	v_add_f16_sdwa v0, v0, v15 dst_sel:DWORD dst_unused:UNUSED_PAD src0_sel:WORD_1 src1_sel:DWORD
	v_mul_f16_e32 v19, 0x3a52, v19
	v_mul_f16_e32 v66, 0x3a52, v66
	;; [unrolled: 1-line block ×8, first 2 shown]
	v_fmamk_f16 v13, v13, 0xbcab, v36
	v_fmamk_f16 v15, v15, 0xbcab, v0
	;; [unrolled: 1-line block ×4, first 2 shown]
	v_fma_f16 v70, v71, 0x39e0, -v70
	v_fma_f16 v73, v72, 0x39e0, -v73
	;; [unrolled: 1-line block ×4, first 2 shown]
	v_fmamk_f16 v71, v41, 0xb574, v74
	v_fmamk_f16 v72, v8, 0xb574, v94
	v_fma_f16 v41, v41, 0x3574, -v95
	v_fma_f16 v8, v8, 0x3574, -v96
	;; [unrolled: 1-line block ×4, first 2 shown]
	v_add_f16_e32 v35, v35, v13
	v_add_f16_e32 v37, v37, v15
	;; [unrolled: 1-line block ×6, first 2 shown]
	v_fmac_f16_e32 v72, 0xb70e, v12
	v_fmac_f16_e32 v8, 0xb70e, v12
	;; [unrolled: 1-line block ×6, first 2 shown]
	v_add_f16_e32 v12, v72, v35
	v_add_f16_e32 v34, v8, v13
	v_sub_f16_e32 v66, v15, v41
	v_sub_f16_e32 v8, v13, v8
	v_add_f16_e32 v13, v41, v15
	v_sub_f16_e32 v15, v35, v72
	v_pack_b32_f16 v35, v67, v62
	v_pack_b32_f16 v1, v1, v38
	v_sub_f16_e32 v19, v37, v71
	v_pack_b32_f16 v2, v2, v64
	v_pack_b32_f16 v5, v5, v6
	v_sub_f16_e32 v74, v70, v4
	ds_write2_b32 v79, v35, v1 offset1:91
	v_pack_b32_f16 v1, v39, v40
	v_pack_b32_f16 v35, v76, v77
	v_add_f16_e32 v94, v14, v73
	v_pack_b32_f16 v6, v9, v10
	v_pack_b32_f16 v9, v68, v63
	v_add_f16_e32 v4, v4, v70
	v_sub_f16_e32 v14, v73, v14
	v_pack_b32_f16 v10, v11, v33
	v_pack_b32_f16 v11, v42, v65
	v_add_f16_e32 v37, v71, v37
	v_pack_b32_f16 v33, v75, v78
	v_pack_b32_f16 v3, v3, v69
	ds_write2_b32 v60, v1, v35 offset0:54 offset1:145
	ds_write2_b32 v58, v2, v5 offset0:108 offset1:199
	ds_write2_b32 v57, v6, v9 offset0:34 offset1:125
	ds_write2_b32 v30, v10, v11 offset0:88 offset1:179
	ds_write2_b32 v61, v33, v3 offset0:142 offset1:233
	v_pack_b32_f16 v1, v7, v17
	v_pack_b32_f16 v2, v16, v18
	;; [unrolled: 1-line block ×4, first 2 shown]
	v_add_nc_u32_e32 v5, 0x1200, v105
	v_pack_b32_f16 v6, v34, v66
	v_pack_b32_f16 v7, v74, v94
	v_add_nc_u32_e32 v9, 0x1600, v105
	v_pack_b32_f16 v4, v4, v14
	v_pack_b32_f16 v8, v8, v13
	v_add_nc_u32_e32 v10, 0x1800, v105
	v_pack_b32_f16 v11, v15, v37
	ds_write2_b32 v59, v1, v2 offset0:68 offset1:159
	ds_write2_b32 v5, v0, v3 offset0:122 offset1:213
	;; [unrolled: 1-line block ×4, first 2 shown]
	ds_write_b32 v105, v11 offset:7280
	s_waitcnt lgkmcnt(0)
	s_barrier
	buffer_gl0_inv
	ds_read2_b32 v[0:1], v79 offset1:91
	ds_read2_b32 v[2:3], v57 offset0:34 offset1:125
	ds_read2_b32 v[4:5], v32 offset0:122 offset1:213
	;; [unrolled: 1-line block ×9, first 2 shown]
	ds_read_b32 v36, v79 offset:7280
	s_waitcnt lgkmcnt(10)
	v_lshrrev_b32_e32 v33, 16, v0
	s_waitcnt lgkmcnt(9)
	v_lshrrev_b32_e32 v34, 16, v3
	;; [unrolled: 2-line block ×4, first 2 shown]
	v_lshrrev_b32_e32 v39, 16, v5
	v_mul_f16_sdwa v74, v55, v3 dst_sel:DWORD dst_unused:UNUSED_PAD src0_sel:WORD_1 src1_sel:DWORD
	v_mul_f16_sdwa v72, v55, v34 dst_sel:DWORD dst_unused:UNUSED_PAD src0_sel:WORD_1 src1_sel:DWORD
	;; [unrolled: 1-line block ×3, first 2 shown]
	v_lshrrev_b32_e32 v41, 16, v7
	s_waitcnt lgkmcnt(5)
	v_lshrrev_b32_e32 v42, 16, v10
	v_fma_f16 v34, v55, v34, -v74
	v_fmac_f16_e32 v72, v55, v3
	v_mul_f16_sdwa v3, v56, v4 dst_sel:DWORD dst_unused:UNUSED_PAD src0_sel:WORD_1 src1_sel:DWORD
	v_mul_f16_sdwa v55, v53, v38 dst_sel:DWORD dst_unused:UNUSED_PAD src0_sel:WORD_1 src1_sel:DWORD
	v_fmac_f16_e32 v76, v56, v4
	v_mul_f16_sdwa v4, v53, v6 dst_sel:DWORD dst_unused:UNUSED_PAD src0_sel:WORD_1 src1_sel:DWORD
	s_waitcnt lgkmcnt(4)
	v_lshrrev_b32_e32 v63, 16, v12
	v_fma_f16 v3, v56, v35, -v3
	v_mul_f16_sdwa v35, v54, v39 dst_sel:DWORD dst_unused:UNUSED_PAD src0_sel:WORD_1 src1_sel:DWORD
	v_fmac_f16_e32 v55, v53, v6
	v_mul_f16_sdwa v6, v54, v5 dst_sel:DWORD dst_unused:UNUSED_PAD src0_sel:WORD_1 src1_sel:DWORD
	v_fma_f16 v4, v53, v38, -v4
	v_mul_f16_sdwa v38, v51, v41 dst_sel:DWORD dst_unused:UNUSED_PAD src0_sel:WORD_1 src1_sel:DWORD
	v_fmac_f16_e32 v35, v54, v5
	v_mul_f16_sdwa v5, v51, v7 dst_sel:DWORD dst_unused:UNUSED_PAD src0_sel:WORD_1 src1_sel:DWORD
	v_lshrrev_b32_e32 v64, 16, v11
	v_fma_f16 v6, v54, v39, -v6
	v_mul_f16_sdwa v39, v52, v42 dst_sel:DWORD dst_unused:UNUSED_PAD src0_sel:WORD_1 src1_sel:DWORD
	v_fmac_f16_e32 v38, v51, v7
	v_mul_f16_sdwa v7, v52, v10 dst_sel:DWORD dst_unused:UNUSED_PAD src0_sel:WORD_1 src1_sel:DWORD
	v_fma_f16 v5, v51, v41, -v5
	v_mul_f16_sdwa v41, v47, v63 dst_sel:DWORD dst_unused:UNUSED_PAD src0_sel:WORD_1 src1_sel:DWORD
	v_lshrrev_b32_e32 v66, 16, v13
	s_waitcnt lgkmcnt(2)
	v_lshrrev_b32_e32 v67, 16, v16
	v_fmac_f16_e32 v39, v52, v10
	v_mul_f16_sdwa v10, v47, v12 dst_sel:DWORD dst_unused:UNUSED_PAD src0_sel:WORD_1 src1_sel:DWORD
	v_fma_f16 v7, v52, v42, -v7
	v_mul_f16_sdwa v42, v48, v64 dst_sel:DWORD dst_unused:UNUSED_PAD src0_sel:WORD_1 src1_sel:DWORD
	v_fmac_f16_e32 v41, v47, v12
	v_mul_f16_sdwa v12, v48, v11 dst_sel:DWORD dst_unused:UNUSED_PAD src0_sel:WORD_1 src1_sel:DWORD
	s_waitcnt lgkmcnt(1)
	v_lshrrev_b32_e32 v69, 16, v18
	v_fma_f16 v10, v47, v63, -v10
	v_mul_f16_sdwa v47, v43, v66 dst_sel:DWORD dst_unused:UNUSED_PAD src0_sel:WORD_1 src1_sel:DWORD
	v_fmac_f16_e32 v42, v48, v11
	v_mul_f16_sdwa v11, v43, v13 dst_sel:DWORD dst_unused:UNUSED_PAD src0_sel:WORD_1 src1_sel:DWORD
	v_fma_f16 v12, v48, v64, -v12
	v_mul_f16_sdwa v48, v44, v67 dst_sel:DWORD dst_unused:UNUSED_PAD src0_sel:WORD_1 src1_sel:DWORD
	v_lshrrev_b32_e32 v70, 16, v17
	v_lshrrev_b32_e32 v73, 16, v19
	v_fmac_f16_e32 v47, v43, v13
	v_mul_f16_sdwa v13, v44, v16 dst_sel:DWORD dst_unused:UNUSED_PAD src0_sel:WORD_1 src1_sel:DWORD
	v_fma_f16 v11, v43, v66, -v11
	v_mul_f16_sdwa v43, v49, v69 dst_sel:DWORD dst_unused:UNUSED_PAD src0_sel:WORD_1 src1_sel:DWORD
	v_fmac_f16_e32 v48, v44, v16
	v_mul_f16_sdwa v16, v49, v18 dst_sel:DWORD dst_unused:UNUSED_PAD src0_sel:WORD_1 src1_sel:DWORD
	s_waitcnt lgkmcnt(0)
	v_lshrrev_b32_e32 v75, 16, v36
	v_fma_f16 v13, v44, v67, -v13
	v_mul_f16_sdwa v44, v50, v70 dst_sel:DWORD dst_unused:UNUSED_PAD src0_sel:WORD_1 src1_sel:DWORD
	v_fmac_f16_e32 v43, v49, v18
	v_mul_f16_sdwa v18, v50, v17 dst_sel:DWORD dst_unused:UNUSED_PAD src0_sel:WORD_1 src1_sel:DWORD
	v_fma_f16 v16, v49, v69, -v16
	v_mul_f16_sdwa v49, v45, v73 dst_sel:DWORD dst_unused:UNUSED_PAD src0_sel:WORD_1 src1_sel:DWORD
	v_fmac_f16_e32 v44, v50, v17
	v_mul_f16_sdwa v17, v45, v19 dst_sel:DWORD dst_unused:UNUSED_PAD src0_sel:WORD_1 src1_sel:DWORD
	;; [unrolled: 4-line block ×3, first 2 shown]
	v_fma_f16 v17, v45, v73, -v17
	v_add_f16_e32 v45, v72, v76
	v_fmac_f16_e32 v50, v46, v36
	v_add_f16_e32 v36, v0, v72
	v_fma_f16 v19, v46, v75, -v19
	v_add_f16_e32 v46, v34, v3
	v_fma_f16 v0, -0.5, v45, v0
	v_sub_f16_e32 v45, v34, v3
	v_add_f16_e32 v34, v33, v34
	v_lshrrev_b32_e32 v37, 16, v1
	v_fmac_f16_e32 v33, -0.5, v46
	v_sub_f16_e32 v46, v72, v76
	v_fmamk_f16 v51, v45, 0xbaee, v0
	v_fmac_f16_e32 v0, 0x3aee, v45
	v_add_f16_e32 v3, v34, v3
	v_add_f16_e32 v34, v55, v35
	v_fmamk_f16 v45, v46, 0x3aee, v33
	v_add_f16_e32 v52, v1, v55
	v_fmac_f16_e32 v33, 0xbaee, v46
	v_add_f16_e32 v46, v4, v6
	v_fmac_f16_e32 v1, -0.5, v34
	v_sub_f16_e32 v34, v4, v6
	v_add_f16_e32 v52, v52, v35
	v_add_f16_e32 v4, v37, v4
	v_fmac_f16_e32 v37, -0.5, v46
	v_sub_f16_e32 v35, v55, v35
	v_lshrrev_b32_e32 v40, 16, v8
	v_fmamk_f16 v46, v34, 0xbaee, v1
	v_fmac_f16_e32 v1, 0x3aee, v34
	v_add_f16_e32 v4, v4, v6
	v_add_f16_e32 v6, v38, v39
	v_fmamk_f16 v34, v35, 0x3aee, v37
	v_fmac_f16_e32 v37, 0xbaee, v35
	v_add_f16_e32 v35, v5, v7
	v_add_f16_e32 v53, v8, v38
	v_fma_f16 v6, -0.5, v6, v8
	v_sub_f16_e32 v8, v5, v7
	v_add_f16_e32 v5, v40, v5
	v_fmac_f16_e32 v40, -0.5, v35
	v_sub_f16_e32 v35, v38, v39
	v_lshrrev_b32_e32 v62, 16, v9
	v_fmamk_f16 v38, v8, 0xbaee, v6
	v_fmac_f16_e32 v6, 0x3aee, v8
	v_add_f16_e32 v5, v5, v7
	v_add_f16_e32 v7, v41, v42
	v_fmamk_f16 v8, v35, 0x3aee, v40
	v_fmac_f16_e32 v40, 0xbaee, v35
	v_add_f16_e32 v35, v10, v12
	v_add_f16_e32 v53, v53, v39
	;; [unrolled: 1-line block ×3, first 2 shown]
	v_fmac_f16_e32 v9, -0.5, v7
	v_sub_f16_e32 v7, v10, v12
	v_add_f16_e32 v10, v62, v10
	v_fmac_f16_e32 v62, -0.5, v35
	v_sub_f16_e32 v35, v41, v42
	v_lshrrev_b32_e32 v65, 16, v14
	v_fmamk_f16 v41, v7, 0xbaee, v9
	v_fmac_f16_e32 v9, 0x3aee, v7
	v_add_f16_e32 v7, v10, v12
	v_add_f16_e32 v10, v47, v48
	v_fmamk_f16 v12, v35, 0x3aee, v62
	v_fmac_f16_e32 v62, 0xbaee, v35
	v_add_f16_e32 v35, v11, v13
	v_add_f16_e32 v39, v39, v42
	;; [unrolled: 1-line block ×3, first 2 shown]
	v_fma_f16 v10, -0.5, v10, v14
	v_sub_f16_e32 v14, v11, v13
	v_add_f16_e32 v11, v65, v11
	v_fmac_f16_e32 v65, -0.5, v35
	v_sub_f16_e32 v35, v47, v48
	v_lshrrev_b32_e32 v68, 16, v15
	v_fmamk_f16 v47, v14, 0xbaee, v10
	v_fmac_f16_e32 v10, 0x3aee, v14
	v_add_f16_e32 v11, v11, v13
	v_add_f16_e32 v13, v43, v44
	v_fmamk_f16 v14, v35, 0x3aee, v65
	v_fmac_f16_e32 v65, 0xbaee, v35
	v_add_f16_e32 v35, v16, v18
	v_lshrrev_b32_e32 v71, 16, v2
	v_add_f16_e32 v42, v42, v48
	v_add_f16_e32 v48, v15, v43
	v_fmac_f16_e32 v15, -0.5, v13
	v_sub_f16_e32 v13, v16, v18
	v_add_f16_e32 v16, v68, v16
	v_fmac_f16_e32 v68, -0.5, v35
	v_sub_f16_e32 v35, v43, v44
	v_add_f16_e32 v48, v48, v44
	v_fmamk_f16 v43, v13, 0xbaee, v15
	v_add_f16_e32 v44, v49, v50
	v_fmac_f16_e32 v15, 0x3aee, v13
	v_add_f16_e32 v13, v16, v18
	v_fmamk_f16 v16, v35, 0x3aee, v68
	v_fmac_f16_e32 v68, 0xbaee, v35
	v_add_f16_e32 v35, v71, v17
	v_add_f16_e32 v36, v36, v76
	;; [unrolled: 1-line block ×3, first 2 shown]
	v_fmac_f16_e32 v2, -0.5, v44
	v_sub_f16_e32 v44, v17, v19
	v_add_f16_e32 v17, v17, v19
	v_add_f16_e32 v19, v35, v19
	v_pack_b32_f16 v35, v51, v45
	v_pack_b32_f16 v0, v0, v33
	;; [unrolled: 1-line block ×4, first 2 shown]
	ds_write_b32 v79, v35 offset:2548
	ds_write_b32 v79, v0 offset:5096
	ds_write2_b32 v79, v3, v4 offset1:91
	v_pack_b32_f16 v0, v46, v34
	v_pack_b32_f16 v3, v38, v8
	v_fmac_f16_e32 v71, -0.5, v17
	v_sub_f16_e32 v17, v49, v50
	v_pack_b32_f16 v1, v1, v37
	v_pack_b32_f16 v4, v53, v5
	;; [unrolled: 1-line block ×3, first 2 shown]
	v_add_nc_u32_e32 v6, 0x1400, v79
	ds_write2_b32 v30, v0, v3 offset0:88 offset1:179
	v_pack_b32_f16 v0, v41, v12
	v_pack_b32_f16 v3, v47, v14
	;; [unrolled: 1-line block ×3, first 2 shown]
	v_add_f16_e32 v18, v18, v50
	v_fmamk_f16 v54, v44, 0xbaee, v2
	v_fmamk_f16 v33, v17, 0x3aee, v71
	v_fmac_f16_e32 v2, 0x3aee, v44
	v_fmac_f16_e32 v71, 0xbaee, v17
	ds_write2_b32 v6, v1, v5 offset0:85 offset1:176
	ds_write2_b32 v60, v4, v7 offset0:54 offset1:145
	v_pack_b32_f16 v1, v9, v62
	ds_write2_b32 v61, v0, v3 offset0:142 offset1:233
	v_pack_b32_f16 v0, v10, v65
	v_pack_b32_f16 v4, v42, v11
	;; [unrolled: 1-line block ×8, first 2 shown]
	v_add_nc_u32_e32 v9, 0x1a00, v79
	ds_write2_b32 v29, v1, v0 offset0:11 offset1:102
	ds_write2_b32 v58, v4, v3 offset0:108 offset1:199
	ds_write_b32 v79, v7 offset:2184
	ds_write2_b32 v59, v5, v8 offset0:68 offset1:159
	ds_write2_b32 v9, v6, v2 offset0:65 offset1:156
	s_waitcnt lgkmcnt(0)
	s_barrier
	buffer_gl0_inv
	ds_read2_b32 v[0:1], v79 offset1:147
	s_waitcnt lgkmcnt(0)
	v_lshrrev_b32_e32 v4, 16, v0
	v_lshrrev_b32_e32 v11, 16, v1
	v_mul_f16_sdwa v2, v93, v4 dst_sel:DWORD dst_unused:UNUSED_PAD src0_sel:WORD_1 src1_sel:DWORD
	v_mul_f16_sdwa v9, v92, v11 dst_sel:DWORD dst_unused:UNUSED_PAD src0_sel:WORD_1 src1_sel:DWORD
	v_fmac_f16_e32 v2, v93, v0
	v_mul_f16_sdwa v0, v93, v0 dst_sel:DWORD dst_unused:UNUSED_PAD src0_sel:WORD_1 src1_sel:DWORD
	v_fmac_f16_e32 v9, v92, v1
	v_cvt_f32_f16_e32 v2, v2
	v_fma_f16 v0, v93, v4, -v0
	v_cvt_f64_f32_e32 v[2:3], v2
	v_cvt_f32_f16_e32 v0, v0
	v_cvt_f64_f32_e32 v[4:5], v0
	v_mul_f64 v[2:3], v[2:3], s[4:5]
	v_mul_f64 v[4:5], v[4:5], s[4:5]
	v_and_or_b32 v0, 0x1ff, v3, v2
	v_lshrrev_b32_e32 v2, 8, v3
	v_bfe_u32 v6, v3, 20, 11
	v_cmp_ne_u32_e64 s0, 0, v0
	v_and_or_b32 v4, 0x1ff, v5, v4
	v_lshrrev_b32_e32 v8, 8, v5
	v_bfe_u32 v12, v5, 20, 11
	v_add_nc_u32_e32 v13, 0xfffffc10, v6
	v_cndmask_b32_e64 v0, 0, 1, s0
	v_cmp_ne_u32_e64 s0, 0, v4
	v_cmp_eq_u32_e64 s2, 0x40f, v13
	v_and_or_b32 v10, 0xffe, v2, v0
	v_sub_nc_u32_e32 v0, 0x3f1, v6
	v_cndmask_b32_e64 v4, 0, 1, s0
	v_or_b32_e32 v2, 0x1000, v10
	v_med3_i32 v0, v0, 0, 13
	v_and_or_b32 v4, 0xffe, v8, v4
	v_sub_nc_u32_e32 v8, 0x3f1, v12
	v_add_nc_u32_e32 v12, 0xfffffc10, v12
	v_lshrrev_b32_e32 v7, v0, v2
	v_or_b32_e32 v14, 0x1000, v4
	v_med3_i32 v15, v8, 0, 13
	v_lshlrev_b32_e32 v0, v0, v7
	v_lshrrev_b32_e32 v16, v15, v14
	v_cmp_ne_u32_e64 s0, v0, v2
	v_cvt_f32_f16_e32 v2, v9
	v_lshlrev_b32_e32 v15, v15, v16
	v_mad_u64_u32 v[8:9], null, s10, v28, 0
	v_cndmask_b32_e64 v0, 0, 1, s0
	v_cmp_gt_i32_e64 s0, 1, v13
	v_or_b32_e32 v0, v7, v0
	v_cvt_f64_f32_e32 v[6:7], v2
	v_lshl_or_b32 v2, v13, 12, v10
	v_cndmask_b32_e64 v2, v2, v0, s0
	v_cmp_ne_u32_e64 s0, v15, v14
	v_mov_b32_e32 v0, v9
	v_lshl_or_b32 v15, v12, 12, v4
	v_and_b32_e32 v17, 7, v2
	v_cndmask_b32_e64 v9, 0, 1, s0
	v_lshrrev_b32_e32 v14, 2, v2
	v_cmp_lt_i32_e64 s0, 5, v17
	v_cmp_eq_u32_e64 s1, 3, v17
	v_or_b32_e32 v9, v16, v9
	v_mul_f16_sdwa v16, v92, v1 dst_sel:DWORD dst_unused:UNUSED_PAD src0_sel:WORD_1 src1_sel:DWORD
	s_or_b32 s0, s1, s0
	v_mul_f64 v[1:2], v[6:7], s[4:5]
	v_add_co_ci_u32_e64 v6, s0, 0, v14, s0
	v_cmp_gt_i32_e64 s0, 1, v12
	v_fma_f16 v7, v92, v11, -v16
	v_cndmask_b32_e64 v11, v15, v9, s0
	v_cmp_ne_u32_e64 s0, 0, v10
	v_cvt_f32_f16_e32 v7, v7
	v_and_b32_e32 v15, 7, v11
	v_cndmask_b32_e64 v9, 0, 1, s0
	v_cmp_gt_i32_e64 s0, 31, v13
	v_cmp_eq_u32_e64 s1, 3, v15
	v_lshl_or_b32 v16, v9, 9, 0x7c00
	v_cndmask_b32_e64 v14, 0x7c00, v6, s0
	v_cvt_f64_f32_e32 v[6:7], v7
	v_cmp_lt_i32_e64 s0, 5, v15
	v_mad_u64_u32 v[9:10], null, s11, v28, v[0:1]
	v_lshrrev_b32_e32 v0, 2, v11
	v_and_or_b32 v1, 0x1ff, v2, v1
	s_or_b32 s0, s1, s0
	v_cndmask_b32_e64 v13, v14, v16, s2
	v_lshrrev_b32_e32 v14, 16, v3
	v_add_co_ci_u32_e64 v10, s0, 0, v0, s0
	v_cmp_ne_u32_e64 s0, 0, v1
	v_lshrrev_b32_e32 v11, 8, v2
	v_bfe_u32 v15, v2, 20, 11
	v_mad_u64_u32 v[0:1], null, s8, v91, 0
	v_cndmask_b32_e64 v3, 0, 1, s0
	v_cmp_ne_u32_e64 s0, 0, v4
	v_lshlrev_b64 v[8:9], 2, v[8:9]
	v_and_or_b32 v17, 0xffe, v11, v3
	v_mul_f64 v[3:4], v[6:7], s[4:5]
	v_cndmask_b32_e64 v16, 0, 1, s0
	v_sub_nc_u32_e32 v11, 0x3f1, v15
	v_cmp_gt_i32_e64 s0, 31, v12
	ds_read2_b32 v[6:7], v58 offset0:38 offset1:185
	v_or_b32_e32 v18, 0x1000, v17
	v_lshl_or_b32 v16, v16, 9, 0x7c00
	v_med3_i32 v19, v11, 0, 13
	v_cndmask_b32_e64 v10, 0x7c00, v10, s0
	v_cmp_eq_u32_e64 s0, 0x40f, v12
	v_cndmask_b32_e64 v12, v10, v16, s0
	v_mad_u64_u32 v[10:11], null, s9, v91, v[1:2]
	v_lshrrev_b32_e32 v1, 16, v5
	v_lshrrev_b32_e32 v5, v19, v18
	v_and_or_b32 v11, 0x8000, v14, v13
	v_lshrrev_b32_e32 v2, 16, v2
	v_and_or_b32 v3, 0x1ff, v4, v3
	v_lshlrev_b32_e32 v13, v19, v5
	s_waitcnt lgkmcnt(0)
	v_lshrrev_b32_e32 v16, 16, v6
	v_and_or_b32 v12, 0x8000, v1, v12
	v_mov_b32_e32 v1, v10
	v_and_b32_e32 v14, 0xffff, v11
	v_cmp_ne_u32_e64 s0, v13, v18
	v_mul_f16_sdwa v11, v90, v16 dst_sel:DWORD dst_unused:UNUSED_PAD src0_sel:WORD_1 src1_sel:DWORD
	v_add_nc_u32_e32 v13, 0xfffffc10, v15
	v_lshrrev_b32_e32 v15, 8, v4
	v_bfe_u32 v18, v4, 20, 11
	v_cndmask_b32_e64 v10, 0, 1, s0
	v_cmp_ne_u32_e64 s0, 0, v3
	v_fmac_f16_e32 v11, v90, v6
	v_lshl_or_b32 v12, v12, 16, v14
	v_mul_f16_sdwa v6, v90, v6 dst_sel:DWORD dst_unused:UNUSED_PAD src0_sel:WORD_1 src1_sel:DWORD
	v_or_b32_e32 v5, v5, v10
	v_cndmask_b32_e64 v3, 0, 1, s0
	v_lshl_or_b32 v10, v13, 12, v17
	v_cmp_gt_i32_e64 s0, 1, v13
	v_cvt_f32_f16_e32 v11, v11
	v_lshlrev_b64 v[0:1], 2, v[0:1]
	v_and_or_b32 v15, 0xffe, v15, v3
	v_sub_nc_u32_e32 v3, 0x3f1, v18
	v_cndmask_b32_e64 v5, v10, v5, s0
	v_cvt_f64_f32_e32 v[10:11], v11
	v_add_co_u32 v33, s0, s6, v8
	v_or_b32_e32 v19, 0x1000, v15
	v_med3_i32 v3, v3, 0, 13
	v_and_b32_e32 v14, 7, v5
	v_add_co_ci_u32_e64 v34, s0, s7, v9, s0
	v_lshrrev_b32_e32 v5, 2, v5
	v_lshrrev_b32_e32 v28, v3, v19
	v_cmp_lt_i32_e64 s0, 5, v14
	v_cmp_eq_u32_e64 s1, 3, v14
	v_fma_f16 v8, v90, v16, -v6
	v_add_nc_u32_e32 v14, 0xfffffc10, v18
	v_lshlrev_b32_e32 v3, v3, v28
	v_lshrrev_b32_e32 v4, 16, v4
	s_or_b32 s0, s1, s0
	v_cvt_f32_f16_e32 v8, v8
	v_add_co_ci_u32_e64 v16, s0, 0, v5, s0
	v_cmp_ne_u32_e64 s2, v3, v19
	v_cmp_ne_u32_e64 s0, 0, v17
	v_lshl_or_b32 v9, v14, 12, v15
	v_mul_f64 v[5:6], v[10:11], s[4:5]
	v_cndmask_b32_e64 v3, 0, 1, s2
	v_cndmask_b32_e64 v10, 0, 1, s0
	v_cmp_gt_i32_e64 s0, 1, v14
	s_mul_i32 s2, s8, 0x93
	v_or_b32_e32 v3, v28, v3
	v_lshl_or_b32 v10, v10, 9, 0x7c00
	v_cndmask_b32_e64 v3, v9, v3, s0
	v_cmp_gt_i32_e64 s0, 31, v13
	v_cvt_f64_f32_e32 v[8:9], v8
	v_cndmask_b32_e64 v11, 0x7c00, v16, s0
	v_add_co_u32 v0, s0, v33, v0
	v_add_co_ci_u32_e64 v1, s0, v34, v1, s0
	v_and_b32_e32 v16, 7, v3
	v_cmp_eq_u32_e64 s0, 0x40f, v13
	v_lshrrev_b32_e32 v3, 2, v3
	v_and_or_b32 v5, 0x1ff, v6, v5
	global_store_dword v[0:1], v12, off
	v_cmp_eq_u32_e64 s1, 3, v16
	v_cndmask_b32_e64 v10, v11, v10, s0
	v_cmp_lt_i32_e64 s0, 5, v16
	v_bfe_u32 v12, v6, 20, 11
	v_lshrrev_b32_e32 v13, 16, v7
	v_and_or_b32 v10, 0x8000, v2, v10
	s_or_b32 s0, s1, s0
	s_mul_hi_u32 s1, s8, 0x93
	v_add_co_ci_u32_e64 v11, s0, 0, v3, s0
	v_cmp_ne_u32_e64 s0, 0, v15
	v_mul_f64 v[2:3], v[8:9], s[4:5]
	v_lshrrev_b32_e32 v9, 8, v6
	v_and_b32_e32 v10, 0xffff, v10
	v_cndmask_b32_e64 v8, 0, 1, s0
	v_cmp_ne_u32_e64 s0, 0, v5
	v_lshl_or_b32 v8, v8, 9, 0x7c00
	v_cndmask_b32_e64 v5, 0, 1, s0
	v_cmp_gt_i32_e64 s0, 31, v14
	v_and_or_b32 v9, 0xffe, v9, v5
	v_cndmask_b32_e64 v11, 0x7c00, v11, s0
	v_sub_nc_u32_e32 v5, 0x3f1, v12
	v_cmp_eq_u32_e64 s0, 0x40f, v14
	v_mul_f16_sdwa v14, v89, v13 dst_sel:DWORD dst_unused:UNUSED_PAD src0_sel:WORD_1 src1_sel:DWORD
	v_add_nc_u32_e32 v12, 0xfffffc10, v12
	v_med3_i32 v5, v5, 0, 13
	v_cndmask_b32_e64 v8, v11, v8, s0
	v_or_b32_e32 v11, 0x1000, v9
	v_fmac_f16_e32 v14, v89, v7
	v_and_or_b32 v2, 0x1ff, v3, v2
	s_mul_i32 s0, s9, 0x93
	v_and_or_b32 v8, 0x8000, v4, v8
	v_lshrrev_b32_e32 v15, v5, v11
	s_add_i32 s3, s1, s0
	v_cvt_f32_f16_e32 v4, v14
	v_cmp_ne_u32_e64 s0, 0, v2
	v_lshrrev_b32_e32 v16, 8, v3
	v_lshlrev_b32_e32 v14, v5, v15
	v_bfe_u32 v17, v3, 20, 11
	v_cvt_f64_f32_e32 v[4:5], v4
	v_cndmask_b32_e64 v2, 0, 1, s0
	v_mul_f16_sdwa v7, v89, v7 dst_sel:DWORD dst_unused:UNUSED_PAD src0_sel:WORD_1 src1_sel:DWORD
	v_cmp_ne_u32_e64 s0, v14, v11
	v_sub_nc_u32_e32 v14, 0x3f1, v17
	s_lshl_b64 s[6:7], s[2:3], 2
	v_and_or_b32 v2, 0xffe, v16, v2
	v_fma_f16 v7, v89, v13, -v7
	v_cndmask_b32_e64 v11, 0, 1, s0
	v_med3_i32 v14, v14, 0, 13
	v_cmp_gt_i32_e64 s0, 1, v12
	v_or_b32_e32 v16, 0x1000, v2
	v_lshl_or_b32 v10, v8, 16, v10
	v_or_b32_e32 v11, v15, v11
	v_lshl_or_b32 v15, v12, 12, v9
	v_cvt_f32_f16_e32 v7, v7
	v_lshrrev_b32_e32 v3, 16, v3
	v_cndmask_b32_e64 v11, v15, v11, s0
	v_lshrrev_b32_e32 v15, v14, v16
	v_add_co_u32 v0, s0, v0, s6
	v_mul_f64 v[4:5], v[4:5], s[4:5]
	v_and_b32_e32 v13, 7, v11
	v_lshlrev_b32_e32 v14, v14, v15
	v_add_co_ci_u32_e64 v1, s0, s7, v1, s0
	v_cvt_f64_f32_e32 v[7:8], v7
	v_cmp_lt_i32_e64 s0, 5, v13
	v_cmp_ne_u32_e64 s1, v14, v16
	global_store_dword v[0:1], v10, off
	v_lshrrev_b32_e32 v10, 2, v11
	v_add_nc_u32_e32 v16, 0xfffffc10, v17
	v_cndmask_b32_e64 v14, 0, 1, s1
	v_cmp_eq_u32_e64 s1, 3, v13
	v_lshl_or_b32 v13, v16, 12, v2
	v_or_b32_e32 v11, v15, v14
	s_or_b32 s0, s1, s0
	v_add_co_ci_u32_e64 v10, s0, 0, v10, s0
	v_cmp_ne_u32_e64 s0, 0, v9
	v_and_or_b32 v4, 0x1ff, v5, v4
	v_lshrrev_b32_e32 v17, 8, v5
	v_bfe_u32 v18, v5, 20, 11
	v_cndmask_b32_e64 v9, 0, 1, s0
	v_cmp_gt_i32_e64 s0, 1, v16
	v_mul_f64 v[7:8], v[7:8], s[4:5]
	v_lshl_or_b32 v14, v9, 9, 0x7c00
	v_cndmask_b32_e64 v11, v13, v11, s0
	v_cmp_gt_i32_e64 s0, 31, v12
	v_and_b32_e32 v15, 7, v11
	v_cndmask_b32_e64 v13, 0x7c00, v10, s0
	v_cmp_ne_u32_e64 s0, 0, v4
	ds_read2_b32 v[9:10], v57 offset0:76 offset1:223
	v_cmp_eq_u32_e64 s1, 3, v15
	v_cndmask_b32_e64 v4, 0, 1, s0
	v_cmp_eq_u32_e64 s0, 0x40f, v12
	v_and_or_b32 v4, 0xffe, v17, v4
	v_cndmask_b32_e64 v12, v13, v14, s0
	v_cmp_lt_i32_e64 s0, 5, v15
	v_lshrrev_b32_e32 v14, 16, v6
	v_lshrrev_b32_e32 v6, 2, v11
	v_sub_nc_u32_e32 v13, 0x3f1, v18
	v_or_b32_e32 v11, 0x1000, v4
	s_or_b32 s0, s1, s0
	v_and_or_b32 v7, 0x1ff, v8, v7
	v_add_co_ci_u32_e64 v6, s0, 0, v6, s0
	v_med3_i32 v13, v13, 0, 13
	v_cmp_ne_u32_e64 s0, 0, v2
	s_waitcnt lgkmcnt(0)
	v_lshrrev_b32_e32 v17, 16, v9
	v_lshrrev_b32_e32 v28, 8, v8
	v_bfe_u32 v33, v8, 20, 11
	v_lshrrev_b32_e32 v15, v13, v11
	v_cndmask_b32_e64 v2, 0, 1, s0
	v_cmp_gt_i32_e64 s0, 31, v16
	v_and_or_b32 v12, 0x8000, v14, v12
	v_lshrrev_b32_e32 v8, 16, v8
	v_lshl_or_b32 v2, v2, 9, 0x7c00
	v_cndmask_b32_e64 v19, 0x7c00, v6, s0
	v_lshlrev_b32_e32 v6, v13, v15
	v_cmp_ne_u32_e64 s0, 0, v7
	v_mul_f16_sdwa v13, v88, v17 dst_sel:DWORD dst_unused:UNUSED_PAD src0_sel:WORD_1 src1_sel:DWORD
	v_and_b32_e32 v12, 0xffff, v12
	v_cndmask_b32_e64 v7, 0, 1, s0
	v_cmp_ne_u32_e64 s0, v6, v11
	v_fmac_f16_e32 v13, v88, v9
	v_add_nc_u32_e32 v11, 0xfffffc10, v18
	v_mul_f16_sdwa v9, v88, v9 dst_sel:DWORD dst_unused:UNUSED_PAD src0_sel:WORD_1 src1_sel:DWORD
	v_and_or_b32 v18, 0xffe, v28, v7
	v_cndmask_b32_e64 v6, 0, 1, s0
	v_sub_nc_u32_e32 v7, 0x3f1, v33
	v_cvt_f32_f16_e32 v13, v13
	v_lshl_or_b32 v28, v11, 12, v4
	v_or_b32_e32 v34, 0x1000, v18
	v_or_b32_e32 v15, v15, v6
	v_med3_i32 v35, v7, 0, 13
	v_cmp_gt_i32_e64 s0, 1, v11
	v_cvt_f64_f32_e32 v[6:7], v13
	v_cndmask_b32_e64 v13, v28, v15, s0
	v_lshrrev_b32_e32 v15, v35, v34
	v_cmp_eq_u32_e64 s0, 0x40f, v16
	v_and_b32_e32 v14, 7, v13
	v_lshlrev_b32_e32 v16, v35, v15
	v_cndmask_b32_e64 v2, v19, v2, s0
	v_lshrrev_b32_e32 v13, 2, v13
	v_cmp_lt_i32_e64 s0, 5, v14
	v_cmp_ne_u32_e64 s1, v16, v34
	v_and_or_b32 v19, 0x8000, v3, v2
	v_fma_f16 v2, v88, v17, -v9
	v_add_nc_u32_e32 v9, 0xfffffc10, v33
	v_cndmask_b32_e64 v3, 0, 1, s1
	v_cmp_eq_u32_e64 s1, 3, v14
	v_cvt_f32_f16_e32 v14, v2
	v_lshl_or_b32 v16, v9, 12, v18
	v_lshl_or_b32 v12, v19, 16, v12
	v_or_b32_e32 v15, v15, v3
	s_or_b32 s0, s1, s0
	v_mul_f64 v[2:3], v[6:7], s[4:5]
	v_add_co_ci_u32_e64 v13, s0, 0, v13, s0
	v_cmp_ne_u32_e64 s0, 0, v4
	v_cvt_f64_f32_e32 v[6:7], v14
	v_cndmask_b32_e64 v4, 0, 1, s0
	v_cmp_gt_i32_e64 s0, 1, v9
	v_lshl_or_b32 v4, v4, 9, 0x7c00
	v_cndmask_b32_e64 v14, v16, v15, s0
	v_cmp_gt_i32_e64 s0, 31, v11
	v_and_b32_e32 v15, 7, v14
	v_cndmask_b32_e64 v13, 0x7c00, v13, s0
	v_add_co_u32 v0, s0, v0, s6
	v_add_co_ci_u32_e64 v1, s0, s7, v1, s0
	v_cmp_eq_u32_e64 s0, 0x40f, v11
	v_and_or_b32 v2, 0x1ff, v3, v2
	v_cmp_eq_u32_e64 s1, 3, v15
	v_lshrrev_b32_e32 v14, 2, v14
	v_bfe_u32 v16, v3, 20, 11
	v_cndmask_b32_e64 v11, v13, v4, s0
	v_lshrrev_b32_e32 v13, 16, v5
	v_mul_f64 v[4:5], v[6:7], s[4:5]
	v_cmp_ne_u32_e64 s2, 0, v2
	v_cmp_lt_i32_e64 s0, 5, v15
	v_lshrrev_b32_e32 v15, 16, v10
	v_lshrrev_b32_e32 v6, 8, v3
	v_and_or_b32 v11, 0x8000, v13, v11
	v_cndmask_b32_e64 v2, 0, 1, s2
	s_or_b32 s0, s1, s0
	v_mul_f16_sdwa v7, v87, v15 dst_sel:DWORD dst_unused:UNUSED_PAD src0_sel:WORD_1 src1_sel:DWORD
	v_add_co_ci_u32_e64 v14, s0, 0, v14, s0
	v_and_or_b32 v2, 0xffe, v6, v2
	v_sub_nc_u32_e32 v6, 0x3f1, v16
	v_cmp_ne_u32_e64 s0, 0, v18
	v_fmac_f16_e32 v7, v87, v10
	v_add_nc_u32_e32 v16, 0xfffffc10, v16
	v_or_b32_e32 v18, 0x1000, v2
	v_med3_i32 v19, v6, 0, 13
	v_cndmask_b32_e64 v17, 0, 1, s0
	v_cmp_gt_i32_e64 s0, 31, v9
	v_cvt_f32_f16_e32 v6, v7
	v_and_b32_e32 v11, 0xffff, v11
	v_lshrrev_b32_e32 v28, v19, v18
	v_lshl_or_b32 v17, v17, 9, 0x7c00
	v_cndmask_b32_e64 v14, 0x7c00, v14, s0
	v_and_or_b32 v4, 0x1ff, v5, v4
	v_cmp_eq_u32_e64 s0, 0x40f, v9
	v_cvt_f64_f32_e32 v[6:7], v6
	v_lshlrev_b32_e32 v13, v19, v28
	v_mul_f16_sdwa v10, v87, v10 dst_sel:DWORD dst_unused:UNUSED_PAD src0_sel:WORD_1 src1_sel:DWORD
	global_store_dword v[0:1], v12, off
	v_cndmask_b32_e64 v9, v14, v17, s0
	v_cmp_ne_u32_e64 s0, 0, v4
	v_lshrrev_b32_e32 v14, 8, v5
	v_bfe_u32 v17, v5, 20, 11
	v_fma_f16 v10, v87, v15, -v10
	v_and_or_b32 v8, 0x8000, v8, v9
	v_cndmask_b32_e64 v4, 0, 1, s0
	v_cmp_ne_u32_e64 s0, v13, v18
	v_lshl_or_b32 v18, v16, 12, v2
	v_cvt_f32_f16_e32 v10, v10
	v_lshl_or_b32 v12, v8, 16, v11
	v_and_or_b32 v4, 0xffe, v14, v4
	v_cndmask_b32_e64 v13, 0, 1, s0
	v_sub_nc_u32_e32 v14, 0x3f1, v17
	v_cmp_gt_i32_e64 s0, 1, v16
	v_lshrrev_b32_e32 v3, 16, v3
	v_or_b32_e32 v9, 0x1000, v4
	v_or_b32_e32 v13, v28, v13
	v_med3_i32 v14, v14, 0, 13
	v_mul_f64 v[6:7], v[6:7], s[4:5]
	v_lshrrev_b32_e32 v5, 16, v5
	v_cndmask_b32_e64 v13, v18, v13, s0
	v_lshrrev_b32_e32 v18, v14, v9
	v_and_b32_e32 v19, 7, v13
	v_lshlrev_b32_e32 v8, v14, v18
	v_lshrrev_b32_e32 v11, 2, v13
	v_add_nc_u32_e32 v14, 0xfffffc10, v17
	v_cmp_lt_i32_e64 s0, 5, v19
	v_cmp_eq_u32_e64 s1, 3, v19
	v_cmp_ne_u32_e64 s2, v8, v9
	v_cvt_f64_f32_e32 v[8:9], v10
	s_or_b32 s0, s1, s0
	v_cndmask_b32_e64 v13, 0, 1, s2
	v_add_co_ci_u32_e64 v15, s0, 0, v11, s0
	v_cmp_ne_u32_e64 s0, 0, v2
	v_lshl_or_b32 v11, v14, 12, v4
	v_or_b32_e32 v10, v18, v13
	v_and_or_b32 v6, 0x1ff, v7, v6
	v_add_nc_u32_e32 v13, 0xd00, v79
	v_cndmask_b32_e64 v2, 0, 1, s0
	v_cmp_gt_i32_e64 s0, 1, v14
	v_bfe_u32 v18, v7, 20, 11
	v_lshl_or_b32 v2, v2, 9, 0x7c00
	v_cndmask_b32_e64 v17, v11, v10, s0
	v_cmp_ne_u32_e64 s0, 0, v6
	ds_read2_b32 v[10:11], v13 offset0:50 offset1:197
	v_lshrrev_b32_e32 v13, 8, v7
	v_mul_f64 v[8:9], v[8:9], s[4:5]
	v_and_b32_e32 v19, 7, v17
	v_cndmask_b32_e64 v6, 0, 1, s0
	v_cmp_gt_i32_e64 s0, 31, v16
	v_lshrrev_b32_e32 v7, 16, v7
	v_cmp_eq_u32_e64 s1, 3, v19
	v_and_or_b32 v6, 0xffe, v13, v6
	v_cndmask_b32_e64 v15, 0x7c00, v15, s0
	v_cmp_eq_u32_e64 s0, 0x40f, v16
	v_sub_nc_u32_e32 v13, 0x3f1, v18
	v_cndmask_b32_e64 v2, v15, v2, s0
	v_cmp_lt_i32_e64 s0, 5, v19
	v_or_b32_e32 v15, 0x1000, v6
	v_med3_i32 v13, v13, 0, 13
	v_and_or_b32 v16, 0x8000, v3, v2
	v_lshrrev_b32_e32 v2, 2, v17
	s_or_b32 s0, s1, s0
	v_lshrrev_b32_e32 v19, v13, v15
	s_waitcnt lgkmcnt(0)
	v_lshrrev_b32_e32 v17, 16, v10
	v_bfe_u32 v33, v9, 20, 11
	v_add_co_ci_u32_e64 v2, s0, 0, v2, s0
	v_cmp_ne_u32_e64 s0, 0, v4
	v_lshlrev_b32_e32 v13, v13, v19
	v_mul_f16_sdwa v3, v86, v17 dst_sel:DWORD dst_unused:UNUSED_PAD src0_sel:WORD_1 src1_sel:DWORD
	v_and_b32_e32 v16, 0xffff, v16
	v_cndmask_b32_e64 v4, 0, 1, s0
	v_cmp_gt_i32_e64 s0, 31, v14
	v_fmac_f16_e32 v3, v86, v10
	v_mul_f16_sdwa v10, v86, v10 dst_sel:DWORD dst_unused:UNUSED_PAD src0_sel:WORD_1 src1_sel:DWORD
	v_lshl_or_b32 v4, v4, 9, 0x7c00
	v_cndmask_b32_e64 v28, 0x7c00, v2, s0
	v_and_or_b32 v2, 0x1ff, v9, v8
	v_cmp_ne_u32_e64 s0, v13, v15
	v_cvt_f32_f16_e32 v3, v3
	v_add_nc_u32_e32 v13, 0xfffffc10, v18
	v_lshrrev_b32_e32 v18, 8, v9
	v_lshrrev_b32_e32 v9, 16, v9
	v_cndmask_b32_e64 v8, 0, 1, s0
	v_cmp_ne_u32_e64 s0, 0, v2
	v_cvt_f64_f32_e32 v[2:3], v3
	v_or_b32_e32 v8, v19, v8
	v_cndmask_b32_e64 v15, 0, 1, s0
	v_cmp_eq_u32_e64 s0, 0x40f, v14
	v_lshl_or_b32 v14, v13, 12, v6
	v_and_or_b32 v15, 0xffe, v18, v15
	v_cndmask_b32_e64 v4, v28, v4, s0
	v_sub_nc_u32_e32 v18, 0x3f1, v33
	v_cmp_gt_i32_e64 s0, 1, v13
	v_and_or_b32 v4, 0x8000, v5, v4
	v_med3_i32 v18, v18, 0, 13
	v_cndmask_b32_e64 v8, v14, v8, s0
	v_or_b32_e32 v14, 0x1000, v15
	v_add_co_u32 v0, s0, v0, s6
	v_add_co_ci_u32_e64 v1, s0, s7, v1, s0
	v_lshrrev_b32_e32 v5, v18, v14
	v_and_b32_e32 v19, 7, v8
	v_mul_f64 v[2:3], v[2:3], s[4:5]
	v_lshl_or_b32 v16, v4, 16, v16
	v_fma_f16 v4, v86, v17, -v10
	v_lshlrev_b32_e32 v18, v18, v5
	v_cmp_lt_i32_e64 s0, 5, v19
	v_lshrrev_b32_e32 v8, 2, v8
	global_store_dword v[0:1], v12, off
	v_cvt_f32_f16_e32 v4, v4
	v_cmp_ne_u32_e64 s1, v18, v14
	v_add_nc_u32_e32 v12, 0xfffffc10, v33
	v_cndmask_b32_e64 v10, 0, 1, s1
	v_cmp_eq_u32_e64 s1, 3, v19
	v_lshl_or_b32 v14, v12, 12, v15
	v_or_b32_e32 v10, v5, v10
	s_or_b32 s0, s1, s0
	v_cvt_f64_f32_e32 v[4:5], v4
	v_add_co_ci_u32_e64 v8, s0, 0, v8, s0
	v_cmp_ne_u32_e64 s0, 0, v6
	v_and_or_b32 v2, 0x1ff, v3, v2
	v_lshrrev_b32_e32 v17, 8, v3
	v_bfe_u32 v18, v3, 20, 11
	v_cndmask_b32_e64 v6, 0, 1, s0
	v_cmp_gt_i32_e64 s0, 1, v12
	v_lshl_or_b32 v6, v6, 9, 0x7c00
	v_cndmask_b32_e64 v10, v14, v10, s0
	v_cmp_gt_i32_e64 s0, 31, v13
	v_and_b32_e32 v14, 7, v10
	v_cndmask_b32_e64 v8, 0x7c00, v8, s0
	v_cmp_ne_u32_e64 s0, 0, v2
	v_mul_f64 v[4:5], v[4:5], s[4:5]
	v_lshrrev_b32_e32 v10, 2, v10
	v_cmp_eq_u32_e64 s1, 3, v14
	v_cndmask_b32_e64 v2, 0, 1, s0
	v_cmp_eq_u32_e64 s0, 0x40f, v13
	v_and_or_b32 v2, 0xffe, v17, v2
	v_cndmask_b32_e64 v6, v8, v6, s0
	v_cmp_lt_i32_e64 s0, 5, v14
	v_sub_nc_u32_e32 v8, 0x3f1, v18
	v_lshrrev_b32_e32 v14, 16, v11
	v_or_b32_e32 v13, 0x1000, v2
	v_and_or_b32 v28, 0x8000, v7, v6
	s_or_b32 s0, s1, s0
	v_med3_i32 v8, v8, 0, 13
	v_add_co_ci_u32_e64 v10, s0, 0, v10, s0
	v_cmp_ne_u32_e64 s0, 0, v15
	v_mul_f16_sdwa v19, v85, v14 dst_sel:DWORD dst_unused:UNUSED_PAD src0_sel:WORD_1 src1_sel:DWORD
	v_lshrrev_b32_e32 v17, v8, v13
	v_and_or_b32 v4, 0x1ff, v5, v4
	v_cndmask_b32_e64 v15, 0, 1, s0
	v_cmp_gt_i32_e64 s0, 31, v12
	v_lshlrev_b32_e32 v6, v8, v17
	v_fmac_f16_e32 v19, v85, v11
	v_mul_f16_sdwa v11, v85, v11 dst_sel:DWORD dst_unused:UNUSED_PAD src0_sel:WORD_1 src1_sel:DWORD
	v_lshl_or_b32 v15, v15, 9, 0x7c00
	v_cndmask_b32_e64 v10, 0x7c00, v10, s0
	v_cmp_eq_u32_e64 s0, 0x40f, v12
	v_cvt_f32_f16_e32 v7, v19
	v_lshrrev_b32_e32 v12, 8, v5
	v_fma_f16 v11, v85, v14, -v11
	v_cndmask_b32_e64 v8, v10, v15, s0
	v_cmp_ne_u32_e64 s0, v6, v13
	v_cvt_f64_f32_e32 v[6:7], v7
	v_bfe_u32 v13, v5, 20, 11
	v_add_nc_u32_e32 v15, 0xfffffc10, v18
	v_and_or_b32 v8, 0x8000, v9, v8
	v_cndmask_b32_e64 v10, 0, 1, s0
	v_cmp_ne_u32_e64 s0, 0, v4
	v_cvt_f32_f16_e32 v11, v11
	v_add_nc_u32_e32 v14, 0xfffffc10, v13
	v_or_b32_e32 v9, v17, v10
	v_cndmask_b32_e64 v4, 0, 1, s0
	v_lshl_or_b32 v10, v15, 12, v2
	v_cmp_gt_i32_e64 s0, 1, v15
	v_and_b32_e32 v17, 0xffff, v28
	v_and_or_b32 v4, 0xffe, v12, v4
	v_sub_nc_u32_e32 v12, 0x3f1, v13
	v_cndmask_b32_e64 v10, v10, v9, s0
	v_add_co_u32 v0, s0, v0, s6
	v_or_b32_e32 v18, 0x1000, v4
	v_med3_i32 v12, v12, 0, 13
	v_add_co_ci_u32_e64 v1, s0, s7, v1, s0
	v_and_b32_e32 v19, 7, v10
	v_mul_f64 v[6:7], v[6:7], s[4:5]
	v_lshrrev_b32_e32 v28, v12, v18
	v_lshl_or_b32 v17, v8, 16, v17
	v_add_co_u32 v8, s0, v0, s6
	v_add_co_ci_u32_e64 v9, s0, s7, v1, s0
	v_lshlrev_b32_e32 v12, v12, v28
	v_cmp_lt_i32_e64 s0, 5, v19
	v_cmp_eq_u32_e64 s1, 3, v19
	v_lshrrev_b32_e32 v10, 2, v10
	v_cmp_ne_u32_e64 s2, v12, v18
	s_or_b32 s0, s1, s0
	v_add_co_ci_u32_e64 v18, s0, 0, v10, s0
	v_cndmask_b32_e64 v12, 0, 1, s2
	v_cmp_ne_u32_e64 s0, 0, v2
	v_cvt_f64_f32_e32 v[10:11], v11
	v_and_or_b32 v6, 0x1ff, v7, v6
	v_or_b32_e32 v19, v28, v12
	v_lshl_or_b32 v28, v14, 12, v4
	v_cndmask_b32_e64 v2, 0, 1, s0
	v_cmp_gt_i32_e64 s0, 1, v14
	ds_read2_b32 v[12:13], v32 offset0:24 offset1:171
	v_lshrrev_b32_e32 v32, 8, v7
	v_bfe_u32 v33, v7, 20, 11
	v_lshl_or_b32 v2, v2, 9, 0x7c00
	v_cndmask_b32_e64 v19, v28, v19, s0
	v_cmp_gt_i32_e64 s0, 31, v15
	global_store_dword v[0:1], v16, off
	global_store_dword v[8:9], v17, off
	v_lshrrev_b32_e32 v7, 16, v7
	v_and_b32_e32 v28, 7, v19
	v_cndmask_b32_e64 v18, 0x7c00, v18, s0
	v_cmp_ne_u32_e64 s0, 0, v6
	v_cmp_eq_u32_e64 s1, 3, v28
	v_cndmask_b32_e64 v6, 0, 1, s0
	v_cmp_eq_u32_e64 s0, 0x40f, v15
	v_and_or_b32 v6, 0xffe, v32, v6
	v_cndmask_b32_e64 v15, v18, v2, s0
	v_cmp_lt_i32_e64 s0, 5, v28
	v_lshrrev_b32_e32 v18, 16, v3
	v_mul_f64 v[2:3], v[10:11], s[4:5]
	v_lshrrev_b32_e32 v11, 2, v19
	v_sub_nc_u32_e32 v32, 0x3f1, v33
	s_or_b32 s0, s1, s0
	v_or_b32_e32 v19, 0x1000, v6
	s_waitcnt lgkmcnt(0)
	v_lshrrev_b32_e32 v10, 16, v12
	v_add_co_ci_u32_e64 v11, s0, 0, v11, s0
	v_med3_i32 v28, v32, 0, 13
	v_cmp_ne_u32_e64 s0, 0, v4
	v_mul_f16_sdwa v32, v84, v10 dst_sel:DWORD dst_unused:UNUSED_PAD src0_sel:WORD_1 src1_sel:DWORD
	v_and_or_b32 v15, 0x8000, v18, v15
	v_lshrrev_b32_e32 v34, v28, v19
	v_cndmask_b32_e64 v4, 0, 1, s0
	v_cmp_gt_i32_e64 s0, 31, v14
	v_fmac_f16_e32 v32, v84, v12
	v_and_b32_e32 v15, 0xffff, v15
	v_lshlrev_b32_e32 v18, v28, v34
	v_lshl_or_b32 v4, v4, 9, 0x7c00
	v_cndmask_b32_e64 v11, 0x7c00, v11, s0
	v_cmp_eq_u32_e64 s0, 0x40f, v14
	v_and_or_b32 v2, 0x1ff, v3, v2
	v_cvt_f32_f16_e32 v28, v32
	v_lshrrev_b32_e32 v14, 16, v5
	v_bfe_u32 v32, v3, 20, 11
	v_cndmask_b32_e64 v11, v11, v4, s0
	v_cmp_ne_u32_e64 s0, v18, v19
	v_cvt_f64_f32_e32 v[4:5], v28
	v_add_nc_u32_e32 v19, 0xfffffc10, v33
	v_lshrrev_b32_e32 v28, 8, v3
	v_and_or_b32 v11, 0x8000, v14, v11
	v_cndmask_b32_e64 v18, 0, 1, s0
	v_cmp_ne_u32_e64 s0, 0, v2
	v_lshl_or_b32 v11, v11, 16, v15
	v_or_b32_e32 v14, v34, v18
	v_cndmask_b32_e64 v2, 0, 1, s0
	v_lshl_or_b32 v18, v19, 12, v6
	v_cmp_gt_i32_e64 s0, 1, v19
	v_and_or_b32 v2, 0xffe, v28, v2
	v_sub_nc_u32_e32 v28, 0x3f1, v32
	v_cndmask_b32_e64 v14, v18, v14, s0
	v_or_b32_e32 v18, 0x1000, v2
	v_med3_i32 v28, v28, 0, 13
	v_and_b32_e32 v15, 7, v14
	v_mul_f64 v[0:1], v[4:5], s[4:5]
	v_add_co_u32 v4, s0, v8, s6
	v_lshrrev_b32_e32 v16, v28, v18
	v_add_co_ci_u32_e64 v5, s0, s7, v9, s0
	v_cmp_lt_i32_e64 s0, 5, v15
	v_cmp_eq_u32_e64 s1, 3, v15
	v_lshlrev_b32_e32 v8, v28, v16
	v_mul_f16_sdwa v9, v84, v12 dst_sel:DWORD dst_unused:UNUSED_PAD src0_sel:WORD_1 src1_sel:DWORD
	v_lshrrev_b32_e32 v12, 2, v14
	global_store_dword v[4:5], v11, off
	s_or_b32 s0, s1, s0
	v_cmp_ne_u32_e64 s2, v8, v18
	v_fma_f16 v9, v84, v10, -v9
	v_add_co_ci_u32_e64 v12, s0, 0, v12, s0
	v_add_nc_u32_e32 v10, 0xfffffc10, v32
	v_cndmask_b32_e64 v8, 0, 1, s2
	v_cmp_ne_u32_e64 s0, 0, v6
	v_cvt_f32_f16_e32 v9, v9
	v_lshl_or_b32 v15, v10, 12, v2
	v_or_b32_e32 v14, v16, v8
	v_cndmask_b32_e64 v6, 0, 1, s0
	v_cmp_gt_i32_e64 s0, 1, v10
	v_cvt_f64_f32_e32 v[8:9], v9
	v_and_or_b32 v0, 0x1ff, v1, v0
	v_lshrrev_b32_e32 v16, 8, v1
	v_lshl_or_b32 v6, v6, 9, 0x7c00
	v_cndmask_b32_e64 v14, v15, v14, s0
	v_cmp_gt_i32_e64 s0, 31, v19
	v_bfe_u32 v17, v1, 20, 11
	v_and_b32_e32 v15, 7, v14
	v_cndmask_b32_e64 v12, 0x7c00, v12, s0
	v_cmp_ne_u32_e64 s0, 0, v0
	v_lshrrev_b32_e32 v14, 2, v14
	v_cmp_eq_u32_e64 s1, 3, v15
	v_cndmask_b32_e64 v0, 0, 1, s0
	v_cmp_eq_u32_e64 s0, 0x40f, v19
	v_and_or_b32 v0, 0xffe, v16, v0
	v_cndmask_b32_e64 v6, v12, v6, s0
	v_cmp_lt_i32_e64 s0, 5, v15
	v_lshrrev_b32_e32 v15, 16, v13
	v_mul_f64 v[8:9], v[8:9], s[4:5]
	v_sub_nc_u32_e32 v12, 0x3f1, v17
	v_or_b32_e32 v16, 0x1000, v0
	s_or_b32 s0, s1, s0
	v_mul_f16_sdwa v18, v83, v15 dst_sel:DWORD dst_unused:UNUSED_PAD src0_sel:WORD_1 src1_sel:DWORD
	v_add_co_ci_u32_e64 v14, s0, 0, v14, s0
	v_cmp_ne_u32_e64 s0, 0, v2
	v_med3_i32 v12, v12, 0, 13
	v_fmac_f16_e32 v18, v83, v13
	v_and_or_b32 v6, 0x8000, v7, v6
	v_mul_f16_sdwa v13, v83, v13 dst_sel:DWORD dst_unused:UNUSED_PAD src0_sel:WORD_1 src1_sel:DWORD
	v_cndmask_b32_e64 v2, 0, 1, s0
	v_cmp_gt_i32_e64 s0, 31, v10
	v_lshrrev_b32_e32 v19, v12, v16
	v_cvt_f32_f16_e32 v18, v18
	v_and_b32_e32 v6, 0xffff, v6
	v_lshl_or_b32 v2, v2, 9, 0x7c00
	v_cndmask_b32_e64 v14, 0x7c00, v14, s0
	v_cmp_eq_u32_e64 s0, 0x40f, v10
	v_lshlrev_b32_e32 v12, v12, v19
	v_and_or_b32 v8, 0x1ff, v9, v8
	v_cndmask_b32_e64 v10, v14, v2, s0
	v_lshrrev_b32_e32 v14, 16, v3
	v_cvt_f64_f32_e32 v[2:3], v18
	v_cmp_ne_u32_e64 s0, v12, v16
	v_add_nc_u32_e32 v16, 0xfffffc10, v17
	v_bfe_u32 v17, v9, 20, 11
	v_and_or_b32 v7, 0x8000, v14, v10
	v_lshrrev_b32_e32 v14, 8, v9
	v_cndmask_b32_e64 v12, 0, 1, s0
	v_cmp_ne_u32_e64 s0, 0, v8
	v_sub_nc_u32_e32 v11, 0x3f1, v17
	v_lshl_or_b32 v6, v7, 16, v6
	v_lshrrev_b32_e32 v9, 16, v9
	v_or_b32_e32 v10, v19, v12
	v_cndmask_b32_e64 v8, 0, 1, s0
	v_lshl_or_b32 v12, v16, 12, v0
	v_cmp_gt_i32_e64 s0, 1, v16
	v_med3_i32 v11, v11, 0, 13
	v_and_or_b32 v8, 0xffe, v14, v8
	v_cndmask_b32_e64 v10, v12, v10, s0
	v_add_co_u32 v4, s0, v4, s6
	v_mul_f64 v[2:3], v[2:3], s[4:5]
	v_or_b32_e32 v12, 0x1000, v8
	v_and_b32_e32 v7, 7, v10
	v_add_co_ci_u32_e64 v5, s0, s7, v5, s0
	v_lshrrev_b32_e32 v14, v11, v12
	v_cmp_lt_i32_e64 s0, 5, v7
	v_cmp_eq_u32_e64 s1, 3, v7
	global_store_dword v[4:5], v6, off
	v_lshrrev_b32_e32 v6, 2, v10
	v_lshlrev_b32_e32 v10, v11, v14
	v_fma_f16 v11, v83, v15, -v13
	s_or_b32 s0, s1, s0
	v_add_nc_u32_e32 v15, 0xfffffc10, v17
	v_add_co_ci_u32_e64 v13, s0, 0, v6, s0
	v_cmp_ne_u32_e64 s0, v10, v12
	ds_read2_b32 v[6:7], v31 offset0:62 offset1:209
	v_cvt_f32_f16_e32 v10, v11
	v_cndmask_b32_e64 v12, 0, 1, s0
	v_and_or_b32 v2, 0x1ff, v3, v2
	v_cmp_gt_i32_e64 s0, 31, v16
	v_cvt_f64_f32_e32 v[10:11], v10
	v_lshrrev_b32_e32 v17, 8, v3
	v_or_b32_e32 v12, v14, v12
	v_lshl_or_b32 v14, v15, 12, v8
	v_cndmask_b32_e64 v13, 0x7c00, v13, s0
	v_cmp_ne_u32_e64 s0, 0, v2
	v_bfe_u32 v18, v3, 20, 11
	v_cndmask_b32_e64 v2, 0, 1, s0
	v_cmp_ne_u32_e64 s0, 0, v0
	v_and_or_b32 v2, 0xffe, v17, v2
	v_cndmask_b32_e64 v0, 0, 1, s0
	v_cmp_gt_i32_e64 s0, 1, v15
	s_waitcnt lgkmcnt(0)
	v_lshrrev_b32_e32 v17, 16, v6
	v_or_b32_e32 v28, 0x1000, v2
	v_lshl_or_b32 v0, v0, 9, 0x7c00
	v_cndmask_b32_e64 v12, v14, v12, s0
	v_sub_nc_u32_e32 v14, 0x3f1, v18
	v_cmp_eq_u32_e64 s0, 0x40f, v16
	v_mul_f16_sdwa v31, v82, v17 dst_sel:DWORD dst_unused:UNUSED_PAD src0_sel:WORD_1 src1_sel:DWORD
	v_mul_f64 v[10:11], v[10:11], s[4:5]
	v_and_b32_e32 v19, 7, v12
	v_med3_i32 v14, v14, 0, 13
	v_cndmask_b32_e64 v13, v13, v0, s0
	v_lshrrev_b32_e32 v0, 2, v12
	v_fmac_f16_e32 v31, v82, v6
	v_cmp_lt_i32_e64 s0, 5, v19
	v_cmp_eq_u32_e64 s1, 3, v19
	v_lshrrev_b32_e32 v16, v14, v28
	v_lshrrev_b32_e32 v19, 16, v1
	v_cvt_f32_f16_e32 v1, v31
	v_add_nc_u32_e32 v18, 0xfffffc10, v18
	s_or_b32 s0, s1, s0
	v_lshlrev_b32_e32 v12, v14, v16
	v_add_co_ci_u32_e64 v14, s0, 0, v0, s0
	v_cmp_ne_u32_e64 s0, 0, v8
	v_cvt_f64_f32_e32 v[0:1], v1
	v_and_or_b32 v13, 0x8000, v19, v13
	v_mul_f16_sdwa v6, v82, v6 dst_sel:DWORD dst_unused:UNUSED_PAD src0_sel:WORD_1 src1_sel:DWORD
	v_lshrrev_b32_e32 v31, 16, v7
	v_cndmask_b32_e64 v8, 0, 1, s0
	v_cmp_ne_u32_e64 s0, v12, v28
	v_and_or_b32 v10, 0x1ff, v11, v10
	v_and_b32_e32 v13, 0xffff, v13
	v_fma_f16 v6, v82, v17, -v6
	v_lshl_or_b32 v8, v8, 9, 0x7c00
	v_cndmask_b32_e64 v12, 0, 1, s0
	v_cmp_gt_i32_e64 s0, 31, v15
	v_cvt_f32_f16_e32 v6, v6
	v_or_b32_e32 v12, v16, v12
	v_cndmask_b32_e64 v14, 0x7c00, v14, s0
	v_cmp_eq_u32_e64 s0, 0x40f, v15
	v_lshl_or_b32 v16, v18, 12, v2
	v_bfe_u32 v15, v11, 20, 11
	v_cndmask_b32_e64 v8, v14, v8, s0
	v_cmp_gt_i32_e64 s0, 1, v18
	v_lshrrev_b32_e32 v14, 8, v11
	v_mul_f64 v[0:1], v[0:1], s[4:5]
	v_lshrrev_b32_e32 v11, 16, v11
	v_and_or_b32 v8, 0x8000, v9, v8
	v_cndmask_b32_e64 v12, v16, v12, s0
	v_cmp_ne_u32_e64 s0, 0, v10
	v_lshl_or_b32 v13, v8, 16, v13
	v_and_b32_e32 v16, 7, v12
	v_cndmask_b32_e64 v10, 0, 1, s0
	v_lshrrev_b32_e32 v12, 2, v12
	v_cmp_lt_i32_e64 s0, 5, v16
	v_and_or_b32 v10, 0xffe, v14, v10
	v_sub_nc_u32_e32 v14, 0x3f1, v15
	v_cmp_eq_u32_e64 s1, 3, v16
	v_or_b32_e32 v9, 0x1000, v10
	v_med3_i32 v14, v14, 0, 13
	s_or_b32 s0, s1, s0
	v_and_or_b32 v0, 0x1ff, v1, v0
	v_add_co_ci_u32_e64 v12, s0, 0, v12, s0
	v_lshrrev_b32_e32 v16, v14, v9
	v_cmp_gt_i32_e64 s0, 31, v18
	v_bfe_u32 v17, v1, 20, 11
	v_lshlrev_b32_e32 v8, v14, v16
	v_cndmask_b32_e64 v12, 0x7c00, v12, s0
	v_cmp_ne_u32_e64 s0, v8, v9
	v_cvt_f64_f32_e32 v[8:9], v6
	v_add_nc_u32_e32 v6, 0xfffffc10, v15
	v_lshrrev_b32_e32 v15, 8, v1
	v_lshrrev_b32_e32 v1, 16, v1
	v_cndmask_b32_e64 v14, 0, 1, s0
	v_cmp_ne_u32_e64 s0, 0, v0
	v_or_b32_e32 v14, v16, v14
	v_cndmask_b32_e64 v0, 0, 1, s0
	v_cmp_ne_u32_e64 s0, 0, v2
	v_lshl_or_b32 v16, v6, 12, v10
	v_and_or_b32 v0, 0xffe, v15, v0
	v_cndmask_b32_e64 v2, 0, 1, s0
	v_cmp_gt_i32_e64 s0, 1, v6
	v_sub_nc_u32_e32 v15, 0x3f1, v17
	v_lshl_or_b32 v2, v2, 9, 0x7c00
	v_cndmask_b32_e64 v14, v16, v14, s0
	v_cmp_eq_u32_e64 s0, 0x40f, v18
	v_or_b32_e32 v16, 0x1000, v0
	v_med3_i32 v15, v15, 0, 13
	v_lshrrev_b32_e32 v18, 16, v3
	v_and_b32_e32 v19, 7, v14
	v_cndmask_b32_e64 v12, v12, v2, s0
	v_mul_f64 v[2:3], v[8:9], s[4:5]
	v_lshrrev_b32_e32 v28, v15, v16
	v_add_co_u32 v4, s0, v4, s6
	v_add_co_ci_u32_e64 v5, s0, s7, v5, s0
	v_lshlrev_b32_e32 v9, v15, v28
	v_mul_f16_sdwa v8, v81, v31 dst_sel:DWORD dst_unused:UNUSED_PAD src0_sel:WORD_1 src1_sel:DWORD
	v_cmp_lt_i32_e64 s0, 5, v19
	v_cmp_eq_u32_e64 s1, 3, v19
	v_lshrrev_b32_e32 v14, 2, v14
	v_cmp_ne_u32_e64 s2, v9, v16
	v_fmac_f16_e32 v8, v81, v7
	v_add_nc_u32_e32 v15, 0xfffffc10, v17
	s_or_b32 s0, s1, s0
	v_and_or_b32 v12, 0x8000, v18, v12
	v_add_co_ci_u32_e64 v14, s0, 0, v14, s0
	v_cndmask_b32_e64 v9, 0, 1, s2
	v_cmp_ne_u32_e64 s0, 0, v10
	v_cvt_f32_f16_e32 v8, v8
	v_lshl_or_b32 v17, v15, 12, v0
	v_and_or_b32 v2, 0x1ff, v3, v2
	v_or_b32_e32 v16, v28, v9
	v_cndmask_b32_e64 v10, 0, 1, s0
	v_cmp_gt_i32_e64 s0, 1, v15
	v_cvt_f64_f32_e32 v[8:9], v8
	v_bfe_u32 v18, v3, 20, 11
	v_and_b32_e32 v12, 0xffff, v12
	v_lshl_or_b32 v10, v10, 9, 0x7c00
	v_cndmask_b32_e64 v16, v17, v16, s0
	v_cmp_ne_u32_e64 s0, 0, v2
	v_lshrrev_b32_e32 v17, 8, v3
	v_mul_f16_sdwa v7, v81, v7 dst_sel:DWORD dst_unused:UNUSED_PAD src0_sel:WORD_1 src1_sel:DWORD
	v_and_b32_e32 v19, 7, v16
	v_cndmask_b32_e64 v2, 0, 1, s0
	v_cmp_gt_i32_e64 s0, 31, v6
	v_fma_f16 v7, v81, v31, -v7
	v_cmp_eq_u32_e64 s1, 3, v19
	v_and_or_b32 v2, 0xffe, v17, v2
	v_cndmask_b32_e64 v14, 0x7c00, v14, s0
	v_cmp_eq_u32_e64 s0, 0x40f, v6
	ds_read_b32 v17, v79 offset:7056
	v_cndmask_b32_e64 v6, v14, v10, s0
	v_sub_nc_u32_e32 v10, 0x3f1, v18
	v_cmp_lt_i32_e64 s0, 5, v19
	v_mul_f64 v[8:9], v[8:9], s[4:5]
	v_or_b32_e32 v14, 0x1000, v2
	v_and_or_b32 v6, 0x8000, v11, v6
	v_lshrrev_b32_e32 v11, 2, v16
	v_med3_i32 v10, v10, 0, 13
	s_or_b32 s0, s1, s0
	v_lshl_or_b32 v12, v6, 16, v12
	v_add_co_ci_u32_e64 v11, s0, 0, v11, s0
	v_lshrrev_b32_e32 v16, v10, v14
	v_cmp_ne_u32_e64 s0, 0, v0
	v_lshlrev_b32_e32 v6, v10, v16
	v_cndmask_b32_e64 v0, 0, 1, s0
	v_cmp_gt_i32_e64 s0, 31, v15
	v_lshl_or_b32 v0, v0, 9, 0x7c00
	v_cndmask_b32_e64 v10, 0x7c00, v11, s0
	v_cmp_ne_u32_e64 s0, v6, v14
	v_and_or_b32 v8, 0x1ff, v9, v8
	v_add_nc_u32_e32 v14, 0xfffffc10, v18
	v_cndmask_b32_e64 v6, 0, 1, s0
	v_cmp_eq_u32_e64 s0, 0x40f, v15
	v_lshl_or_b32 v11, v14, 12, v2
	v_lshrrev_b32_e32 v15, 8, v9
	v_cndmask_b32_e64 v0, v10, v0, s0
	v_cmp_ne_u32_e64 s0, 0, v8
	v_or_b32_e32 v10, v16, v6
	v_cvt_f32_f16_e32 v6, v7
	v_bfe_u32 v16, v9, 20, 11
	v_and_or_b32 v33, 0x8000, v1, v0
	v_cndmask_b32_e64 v8, 0, 1, s0
	v_cmp_gt_i32_e64 s0, 1, v14
	v_cvt_f64_f32_e32 v[6:7], v6
	v_lshrrev_b32_e32 v9, 16, v9
	v_and_or_b32 v8, 0xffe, v15, v8
	v_cndmask_b32_e64 v18, v11, v10, s0
	v_sub_nc_u32_e32 v10, 0x3f1, v16
	s_waitcnt lgkmcnt(0)
	v_lshrrev_b32_e32 v15, 16, v17
	v_add_nc_u32_e32 v16, 0xfffffc10, v16
	v_or_b32_e32 v28, 0x1000, v8
	v_and_b32_e32 v19, 7, v18
	v_med3_i32 v31, v10, 0, 13
	v_mul_f16_sdwa v32, v80, v15 dst_sel:DWORD dst_unused:UNUSED_PAD src0_sel:WORD_1 src1_sel:DWORD
	v_add_co_u32 v10, s0, v4, s6
	v_add_co_ci_u32_e64 v11, s0, s7, v5, s0
	v_lshrrev_b32_e32 v34, v31, v28
	v_fmac_f16_e32 v32, v80, v17
	v_cmp_lt_i32_e64 s0, 5, v19
	v_cmp_eq_u32_e64 s1, 3, v19
	v_lshrrev_b32_e32 v18, 2, v18
	v_lshlrev_b32_e32 v19, v31, v34
	v_cvt_f32_f16_e32 v31, v32
	v_mul_f64 v[0:1], v[6:7], s[4:5]
	s_or_b32 s0, s1, s0
	v_mul_f16_sdwa v17, v80, v17 dst_sel:DWORD dst_unused:UNUSED_PAD src0_sel:WORD_1 src1_sel:DWORD
	v_add_co_ci_u32_e64 v18, s0, 0, v18, s0
	v_cmp_ne_u32_e64 s0, v19, v28
	v_cvt_f64_f32_e32 v[6:7], v31
	v_lshl_or_b32 v28, v16, 12, v8
	v_fma_f16 v15, v80, v15, -v17
	v_cndmask_b32_e64 v19, 0, 1, s0
	v_cmp_ne_u32_e64 s0, 0, v2
	v_cvt_f32_f16_e32 v15, v15
	v_or_b32_e32 v19, v34, v19
	v_cndmask_b32_e64 v2, 0, 1, s0
	v_cmp_gt_i32_e64 s0, 31, v14
	v_lshl_or_b32 v2, v2, 9, 0x7c00
	v_cndmask_b32_e64 v17, 0x7c00, v18, s0
	v_cmp_gt_i32_e64 s0, 1, v16
	v_and_or_b32 v0, 0x1ff, v1, v0
	v_cndmask_b32_e64 v18, v28, v19, s0
	v_cmp_eq_u32_e64 s0, 0x40f, v14
	v_mul_f64 v[6:7], v[6:7], s[4:5]
	v_lshrrev_b32_e32 v19, 8, v1
	v_bfe_u32 v28, v1, 20, 11
	v_lshrrev_b32_e32 v1, 16, v1
	v_cndmask_b32_e64 v14, v17, v2, s0
	v_lshrrev_b32_e32 v17, 16, v3
	v_cvt_f64_f32_e32 v[2:3], v15
	v_cmp_ne_u32_e64 s0, 0, v0
	v_and_b32_e32 v15, 7, v18
	v_and_or_b32 v14, 0x8000, v17, v14
	v_and_b32_e32 v17, 0xffff, v33
	v_cndmask_b32_e64 v0, 0, 1, s0
	v_cmp_lt_i32_e64 s0, 5, v15
	v_cmp_eq_u32_e64 s1, 3, v15
	v_lshrrev_b32_e32 v15, 2, v18
	v_lshl_or_b32 v14, v14, 16, v17
	v_and_or_b32 v0, 0xffe, v19, v0
	v_sub_nc_u32_e32 v19, 0x3f1, v28
	s_or_b32 s0, s1, s0
	v_add_co_ci_u32_e64 v15, s0, 0, v15, s0
	v_or_b32_e32 v17, 0x1000, v0
	v_med3_i32 v18, v19, 0, 13
	v_cmp_ne_u32_e64 s0, 0, v8
	v_and_or_b32 v6, 0x1ff, v7, v6
	v_lshrrev_b32_e32 v31, 8, v7
	v_mul_f64 v[2:3], v[2:3], s[4:5]
	v_lshrrev_b32_e32 v19, v18, v17
	v_cndmask_b32_e64 v8, 0, 1, s0
	v_cmp_gt_i32_e64 s0, 31, v16
	v_bfe_u32 v32, v7, 20, 11
	v_lshrrev_b32_e32 v7, 16, v7
	v_lshlrev_b32_e32 v18, v18, v19
	v_lshl_or_b32 v8, v8, 9, 0x7c00
	v_cndmask_b32_e64 v15, 0x7c00, v15, s0
	v_cmp_ne_u32_e64 s0, 0, v6
	v_cndmask_b32_e64 v6, 0, 1, s0
	v_cmp_ne_u32_e64 s0, v18, v17
	v_add_nc_u32_e32 v18, 0xfffffc10, v28
	v_sub_nc_u32_e32 v28, 0x3f1, v32
	v_and_or_b32 v6, 0xffe, v31, v6
	v_cndmask_b32_e64 v17, 0, 1, s0
	v_cmp_eq_u32_e64 s0, 0x40f, v16
	v_lshl_or_b32 v16, v18, 12, v0
	v_and_or_b32 v2, 0x1ff, v3, v2
	v_bfe_u32 v31, v3, 20, 11
	v_cndmask_b32_e64 v8, v15, v8, s0
	v_or_b32_e32 v15, v19, v17
	v_or_b32_e32 v17, 0x1000, v6
	v_med3_i32 v19, v28, 0, 13
	v_cmp_gt_i32_e64 s0, 1, v18
	v_lshrrev_b32_e32 v28, 8, v3
	v_and_or_b32 v8, 0x8000, v9, v8
	v_sub_nc_u32_e32 v9, 0x3f1, v31
	v_cndmask_b32_e64 v15, v16, v15, s0
	v_lshrrev_b32_e32 v16, v19, v17
	v_cmp_ne_u32_e64 s0, 0, v2
	v_med3_i32 v9, v9, 0, 13
	v_and_b32_e32 v33, 7, v15
	v_lshlrev_b32_e32 v19, v19, v16
	v_cndmask_b32_e64 v2, 0, 1, s0
	v_lshrrev_b32_e32 v15, 2, v15
	v_cmp_lt_i32_e64 s0, 5, v33
	v_cmp_ne_u32_e64 s1, v19, v17
	v_and_or_b32 v2, 0xffe, v28, v2
	v_add_nc_u32_e32 v28, 0xfffffc10, v32
	v_cndmask_b32_e64 v17, 0, 1, s1
	v_cmp_eq_u32_e64 s1, 3, v33
	v_or_b32_e32 v19, 0x1000, v2
	v_lshl_or_b32 v32, v28, 12, v6
	v_or_b32_e32 v16, v16, v17
	s_or_b32 s0, s1, s0
	v_lshrrev_b32_e32 v17, v9, v19
	v_add_co_ci_u32_e64 v15, s0, 0, v15, s0
	v_cmp_gt_i32_e64 s0, 1, v28
	v_lshlrev_b32_e32 v9, v9, v17
	v_cndmask_b32_e64 v16, v32, v16, s0
	v_cmp_ne_u32_e64 s0, 0, v0
	v_cndmask_b32_e64 v0, 0, 1, s0
	v_cmp_ne_u32_e64 s0, v9, v19
	v_add_nc_u32_e32 v19, 0xfffffc10, v31
	v_and_b32_e32 v31, 7, v16
	v_lshl_or_b32 v0, v0, 9, 0x7c00
	v_cndmask_b32_e64 v9, 0, 1, s0
	v_cmp_gt_i32_e64 s0, 31, v18
	v_cmp_gt_i32_e64 s2, 1, v19
	v_cmp_eq_u32_e64 s1, 3, v31
	v_or_b32_e32 v9, v17, v9
	v_lshl_or_b32 v17, v19, 12, v2
	v_cndmask_b32_e64 v15, 0x7c00, v15, s0
	v_cmp_lt_i32_e64 s0, 5, v31
	v_cndmask_b32_e64 v9, v17, v9, s2
	v_cmp_eq_u32_e64 s2, 0x40f, v18
	s_or_b32 s0, s1, s0
	v_cndmask_b32_e64 v0, v15, v0, s2
	v_lshrrev_b32_e32 v15, 2, v16
	v_and_b32_e32 v16, 7, v9
	v_lshrrev_b32_e32 v9, 2, v9
	v_cmp_gt_i32_e64 s2, 31, v28
	v_and_or_b32 v0, 0x8000, v1, v0
	v_add_co_ci_u32_e64 v15, s0, 0, v15, s0
	v_cmp_ne_u32_e64 s0, 0, v6
	v_cmp_eq_u32_e64 s1, 3, v16
	v_and_b32_e32 v1, 0xffff, v8
	v_cndmask_b32_e64 v15, 0x7c00, v15, s2
	v_lshrrev_b32_e32 v8, 16, v3
	v_cndmask_b32_e64 v6, 0, 1, s0
	v_cmp_lt_i32_e64 s0, 5, v16
	v_lshl_or_b32 v6, v6, 9, 0x7c00
	s_or_b32 s0, s1, s0
	v_add_co_ci_u32_e64 v9, s0, 0, v9, s0
	v_cmp_ne_u32_e64 s0, 0, v2
	v_cndmask_b32_e64 v2, 0, 1, s0
	v_cmp_eq_u32_e64 s0, 0x40f, v28
	v_lshl_or_b32 v2, v2, 9, 0x7c00
	v_cndmask_b32_e64 v6, v15, v6, s0
	v_cmp_gt_i32_e64 s0, 31, v19
	v_and_or_b32 v6, 0x8000, v7, v6
	v_cndmask_b32_e64 v9, 0x7c00, v9, s0
	v_cmp_eq_u32_e64 s0, 0x40f, v19
	v_cndmask_b32_e64 v7, v9, v2, s0
	v_add_co_u32 v2, s0, v10, s6
	v_add_co_ci_u32_e64 v3, s0, s7, v11, s0
	v_lshl_or_b32 v9, v0, 16, v1
	v_and_or_b32 v0, 0x8000, v8, v7
	v_and_b32_e32 v1, 0xffff, v6
	v_add_co_u32 v6, s0, v2, s6
	v_add_co_ci_u32_e64 v7, s0, s7, v3, s0
	v_lshl_or_b32 v8, v0, 16, v1
	v_add_co_u32 v0, s0, v6, s6
	v_add_co_ci_u32_e64 v1, s0, s7, v7, s0
	global_store_dword v[4:5], v13, off
	global_store_dword v[10:11], v12, off
	;; [unrolled: 1-line block ×5, first 2 shown]
	s_and_b32 exec_lo, exec_lo, vcc_lo
	s_cbranch_execz .LBB0_15
; %bb.14:
	global_load_dword v4, v[26:27], off offset:364
	ds_read2_b32 v[2:3], v79 offset0:91 offset1:238
	v_mad_u64_u32 v[0:1], null, 0xffffe5dc, s8, v[0:1]
	s_waitcnt lgkmcnt(0)
	v_lshrrev_b32_e32 v5, 16, v2
	s_waitcnt vmcnt(0)
	v_mul_f16_sdwa v6, v5, v4 dst_sel:DWORD dst_unused:UNUSED_PAD src0_sel:DWORD src1_sel:WORD_1
	v_mul_f16_sdwa v7, v2, v4 dst_sel:DWORD dst_unused:UNUSED_PAD src0_sel:DWORD src1_sel:WORD_1
	v_fmac_f16_e32 v6, v2, v4
	v_fma_f16 v2, v4, v5, -v7
	v_cvt_f32_f16_e32 v4, v6
	v_cvt_f32_f16_e32 v2, v2
	v_cvt_f64_f32_e32 v[4:5], v4
	v_cvt_f64_f32_e32 v[6:7], v2
	v_mul_f64 v[4:5], v[4:5], s[4:5]
	v_mul_f64 v[6:7], v[6:7], s[4:5]
	v_and_or_b32 v2, 0x1ff, v5, v4
	v_and_or_b32 v6, 0x1ff, v7, v6
	v_lshrrev_b32_e32 v4, 8, v5
	v_bfe_u32 v8, v5, 20, 11
	v_lshrrev_b32_e32 v9, 8, v7
	v_cmp_ne_u32_e32 vcc_lo, 0, v2
	v_bfe_u32 v10, v7, 20, 11
	v_lshrrev_b32_e32 v5, 16, v5
	v_sub_nc_u32_e32 v11, 0x3f1, v8
	v_add_nc_u32_e32 v8, 0xfffffc10, v8
	v_cndmask_b32_e64 v2, 0, 1, vcc_lo
	v_cmp_ne_u32_e32 vcc_lo, 0, v6
	v_lshrrev_b32_e32 v7, 16, v7
	v_and_or_b32 v2, 0xffe, v4, v2
	v_cndmask_b32_e64 v6, 0, 1, vcc_lo
	v_sub_nc_u32_e32 v4, 0x3f1, v10
	v_add_nc_u32_e32 v10, 0xfffffc10, v10
	v_and_or_b32 v6, 0xffe, v9, v6
	v_med3_i32 v9, v11, 0, 13
	v_or_b32_e32 v11, 0x1000, v2
	v_med3_i32 v4, v4, 0, 13
	v_or_b32_e32 v12, 0x1000, v6
	v_lshrrev_b32_e32 v13, v9, v11
	v_lshrrev_b32_e32 v14, v4, v12
	v_lshlrev_b32_e32 v9, v9, v13
	v_lshlrev_b32_e32 v4, v4, v14
	v_cmp_ne_u32_e32 vcc_lo, v9, v11
	v_lshl_or_b32 v11, v8, 12, v2
	v_cndmask_b32_e64 v9, 0, 1, vcc_lo
	v_cmp_ne_u32_e32 vcc_lo, v4, v12
	v_lshl_or_b32 v12, v10, 12, v6
	v_or_b32_e32 v9, v13, v9
	v_cndmask_b32_e64 v4, 0, 1, vcc_lo
	v_cmp_gt_i32_e32 vcc_lo, 1, v8
	v_or_b32_e32 v4, v14, v4
	v_cndmask_b32_e32 v9, v11, v9, vcc_lo
	v_cmp_gt_i32_e32 vcc_lo, 1, v10
	v_and_b32_e32 v11, 7, v9
	v_cndmask_b32_e32 v4, v12, v4, vcc_lo
	v_cmp_ne_u32_e32 vcc_lo, 0, v2
	v_lshrrev_b32_e32 v9, 2, v9
	v_cmp_eq_u32_e64 s0, 3, v11
	v_and_b32_e32 v12, 7, v4
	v_cndmask_b32_e64 v2, 0, 1, vcc_lo
	v_cmp_ne_u32_e32 vcc_lo, 0, v6
	v_lshrrev_b32_e32 v4, 2, v4
	v_cmp_lt_i32_e64 s1, 5, v12
	v_cmp_eq_u32_e64 s2, 3, v12
	v_cndmask_b32_e64 v6, 0, 1, vcc_lo
	v_cmp_lt_i32_e32 vcc_lo, 5, v11
	v_lshl_or_b32 v2, v2, 9, 0x7c00
	v_lshl_or_b32 v6, v6, 9, 0x7c00
	s_or_b32 vcc_lo, s0, vcc_lo
	s_mul_i32 s0, s9, 0xffffe5dc
	v_add_co_ci_u32_e32 v9, vcc_lo, 0, v9, vcc_lo
	s_or_b32 vcc_lo, s2, s1
	s_sub_i32 s0, s0, s8
	v_add_co_ci_u32_e32 v4, vcc_lo, 0, v4, vcc_lo
	v_cmp_gt_i32_e32 vcc_lo, 31, v8
	v_add_nc_u32_e32 v1, s0, v1
	v_cndmask_b32_e32 v9, 0x7c00, v9, vcc_lo
	v_cmp_gt_i32_e32 vcc_lo, 31, v10
	v_cndmask_b32_e32 v4, 0x7c00, v4, vcc_lo
	v_cmp_eq_u32_e32 vcc_lo, 0x40f, v8
	v_cndmask_b32_e32 v2, v9, v2, vcc_lo
	v_cmp_eq_u32_e32 vcc_lo, 0x40f, v10
	v_and_or_b32 v2, 0x8000, v5, v2
	v_cndmask_b32_e32 v4, v4, v6, vcc_lo
	v_and_b32_e32 v2, 0xffff, v2
	v_and_or_b32 v4, 0x8000, v7, v4
	v_lshl_or_b32 v2, v4, 16, v2
	v_lshrrev_b32_e32 v4, 16, v3
	global_store_dword v[0:1], v2, off
	global_load_dword v2, v[26:27], off offset:952
	s_waitcnt vmcnt(0)
	v_mul_f16_sdwa v5, v4, v2 dst_sel:DWORD dst_unused:UNUSED_PAD src0_sel:DWORD src1_sel:WORD_1
	v_mul_f16_sdwa v6, v3, v2 dst_sel:DWORD dst_unused:UNUSED_PAD src0_sel:DWORD src1_sel:WORD_1
	v_fmac_f16_e32 v5, v3, v2
	v_fma_f16 v2, v2, v4, -v6
	v_cvt_f32_f16_e32 v3, v5
	v_cvt_f32_f16_e32 v4, v2
	v_cvt_f64_f32_e32 v[2:3], v3
	v_cvt_f64_f32_e32 v[4:5], v4
	v_mul_f64 v[2:3], v[2:3], s[4:5]
	v_mul_f64 v[4:5], v[4:5], s[4:5]
	v_and_or_b32 v2, 0x1ff, v3, v2
	v_and_or_b32 v4, 0x1ff, v5, v4
	v_lshrrev_b32_e32 v6, 8, v3
	v_bfe_u32 v7, v3, 20, 11
	v_lshrrev_b32_e32 v8, 8, v5
	v_cmp_ne_u32_e32 vcc_lo, 0, v2
	v_bfe_u32 v9, v5, 20, 11
	v_lshrrev_b32_e32 v3, 16, v3
	v_sub_nc_u32_e32 v10, 0x3f1, v7
	v_add_nc_u32_e32 v7, 0xfffffc10, v7
	v_cndmask_b32_e64 v2, 0, 1, vcc_lo
	v_cmp_ne_u32_e32 vcc_lo, 0, v4
	v_lshrrev_b32_e32 v5, 16, v5
	v_and_or_b32 v2, 0xffe, v6, v2
	v_cndmask_b32_e64 v4, 0, 1, vcc_lo
	v_sub_nc_u32_e32 v6, 0x3f1, v9
	v_add_nc_u32_e32 v9, 0xfffffc10, v9
	v_and_or_b32 v4, 0xffe, v8, v4
	v_med3_i32 v8, v10, 0, 13
	v_or_b32_e32 v10, 0x1000, v2
	v_med3_i32 v6, v6, 0, 13
	v_or_b32_e32 v11, 0x1000, v4
	v_lshrrev_b32_e32 v12, v8, v10
	v_lshrrev_b32_e32 v13, v6, v11
	v_lshlrev_b32_e32 v8, v8, v12
	v_lshlrev_b32_e32 v6, v6, v13
	v_cmp_ne_u32_e32 vcc_lo, v8, v10
	v_lshl_or_b32 v10, v7, 12, v2
	v_cndmask_b32_e64 v8, 0, 1, vcc_lo
	v_cmp_ne_u32_e32 vcc_lo, v6, v11
	v_lshl_or_b32 v11, v9, 12, v4
	v_or_b32_e32 v8, v12, v8
	v_cndmask_b32_e64 v6, 0, 1, vcc_lo
	v_cmp_gt_i32_e32 vcc_lo, 1, v7
	v_or_b32_e32 v6, v13, v6
	v_cndmask_b32_e32 v8, v10, v8, vcc_lo
	v_cmp_gt_i32_e32 vcc_lo, 1, v9
	v_and_b32_e32 v10, 7, v8
	v_cndmask_b32_e32 v6, v11, v6, vcc_lo
	v_cmp_ne_u32_e32 vcc_lo, 0, v2
	v_lshrrev_b32_e32 v8, 2, v8
	v_cmp_eq_u32_e64 s0, 3, v10
	v_and_b32_e32 v11, 7, v6
	v_cndmask_b32_e64 v2, 0, 1, vcc_lo
	v_cmp_ne_u32_e32 vcc_lo, 0, v4
	v_lshrrev_b32_e32 v6, 2, v6
	v_cmp_lt_i32_e64 s1, 5, v11
	v_cmp_eq_u32_e64 s2, 3, v11
	v_cndmask_b32_e64 v4, 0, 1, vcc_lo
	v_cmp_lt_i32_e32 vcc_lo, 5, v10
	v_lshl_or_b32 v2, v2, 9, 0x7c00
	v_lshl_or_b32 v4, v4, 9, 0x7c00
	s_or_b32 vcc_lo, s0, vcc_lo
	v_add_co_ci_u32_e32 v8, vcc_lo, 0, v8, vcc_lo
	s_or_b32 vcc_lo, s2, s1
	v_add_co_ci_u32_e32 v6, vcc_lo, 0, v6, vcc_lo
	v_cmp_gt_i32_e32 vcc_lo, 31, v7
	v_cndmask_b32_e32 v8, 0x7c00, v8, vcc_lo
	v_cmp_gt_i32_e32 vcc_lo, 31, v9
	v_cndmask_b32_e32 v6, 0x7c00, v6, vcc_lo
	v_cmp_eq_u32_e32 vcc_lo, 0x40f, v7
	v_cndmask_b32_e32 v2, v8, v2, vcc_lo
	v_cmp_eq_u32_e32 vcc_lo, 0x40f, v9
	v_and_or_b32 v2, 0x8000, v3, v2
	v_cndmask_b32_e32 v4, v6, v4, vcc_lo
	v_add_co_u32 v0, vcc_lo, v0, s6
	v_add_co_ci_u32_e32 v1, vcc_lo, s7, v1, vcc_lo
	v_and_or_b32 v3, 0x8000, v5, v4
	v_and_b32_e32 v2, 0xffff, v2
	v_lshl_or_b32 v2, v3, 16, v2
	global_store_dword v[0:1], v2, off
	global_load_dword v4, v[26:27], off offset:1540
	v_add_nc_u32_e32 v2, 0x600, v79
	ds_read2_b32 v[2:3], v2 offset0:1 offset1:148
	s_waitcnt lgkmcnt(0)
	v_lshrrev_b32_e32 v5, 16, v2
	s_waitcnt vmcnt(0)
	v_mul_f16_sdwa v6, v5, v4 dst_sel:DWORD dst_unused:UNUSED_PAD src0_sel:DWORD src1_sel:WORD_1
	v_mul_f16_sdwa v7, v2, v4 dst_sel:DWORD dst_unused:UNUSED_PAD src0_sel:DWORD src1_sel:WORD_1
	v_fmac_f16_e32 v6, v2, v4
	v_fma_f16 v2, v4, v5, -v7
	v_cvt_f32_f16_e32 v4, v6
	v_cvt_f32_f16_e32 v2, v2
	v_cvt_f64_f32_e32 v[4:5], v4
	v_cvt_f64_f32_e32 v[6:7], v2
	v_mul_f64 v[4:5], v[4:5], s[4:5]
	v_mul_f64 v[6:7], v[6:7], s[4:5]
	v_and_or_b32 v2, 0x1ff, v5, v4
	v_and_or_b32 v6, 0x1ff, v7, v6
	v_lshrrev_b32_e32 v4, 8, v5
	v_bfe_u32 v8, v5, 20, 11
	v_lshrrev_b32_e32 v9, 8, v7
	v_cmp_ne_u32_e32 vcc_lo, 0, v2
	v_bfe_u32 v10, v7, 20, 11
	v_lshrrev_b32_e32 v5, 16, v5
	v_sub_nc_u32_e32 v11, 0x3f1, v8
	v_add_nc_u32_e32 v8, 0xfffffc10, v8
	v_cndmask_b32_e64 v2, 0, 1, vcc_lo
	v_cmp_ne_u32_e32 vcc_lo, 0, v6
	v_lshrrev_b32_e32 v7, 16, v7
	v_and_or_b32 v2, 0xffe, v4, v2
	v_cndmask_b32_e64 v6, 0, 1, vcc_lo
	v_sub_nc_u32_e32 v4, 0x3f1, v10
	v_add_nc_u32_e32 v10, 0xfffffc10, v10
	v_and_or_b32 v6, 0xffe, v9, v6
	v_med3_i32 v9, v11, 0, 13
	v_or_b32_e32 v11, 0x1000, v2
	v_med3_i32 v4, v4, 0, 13
	v_or_b32_e32 v12, 0x1000, v6
	v_lshrrev_b32_e32 v13, v9, v11
	v_lshrrev_b32_e32 v14, v4, v12
	v_lshlrev_b32_e32 v9, v9, v13
	v_lshlrev_b32_e32 v4, v4, v14
	v_cmp_ne_u32_e32 vcc_lo, v9, v11
	v_lshl_or_b32 v11, v8, 12, v2
	v_cndmask_b32_e64 v9, 0, 1, vcc_lo
	v_cmp_ne_u32_e32 vcc_lo, v4, v12
	v_lshl_or_b32 v12, v10, 12, v6
	v_or_b32_e32 v9, v13, v9
	v_cndmask_b32_e64 v4, 0, 1, vcc_lo
	v_cmp_gt_i32_e32 vcc_lo, 1, v8
	v_or_b32_e32 v4, v14, v4
	v_cndmask_b32_e32 v9, v11, v9, vcc_lo
	v_cmp_gt_i32_e32 vcc_lo, 1, v10
	v_and_b32_e32 v11, 7, v9
	v_cndmask_b32_e32 v4, v12, v4, vcc_lo
	v_cmp_ne_u32_e32 vcc_lo, 0, v2
	v_lshrrev_b32_e32 v9, 2, v9
	v_cmp_eq_u32_e64 s0, 3, v11
	v_and_b32_e32 v12, 7, v4
	v_cndmask_b32_e64 v2, 0, 1, vcc_lo
	v_cmp_ne_u32_e32 vcc_lo, 0, v6
	v_lshrrev_b32_e32 v4, 2, v4
	v_cmp_lt_i32_e64 s1, 5, v12
	v_cmp_eq_u32_e64 s2, 3, v12
	v_cndmask_b32_e64 v6, 0, 1, vcc_lo
	v_cmp_lt_i32_e32 vcc_lo, 5, v11
	v_lshl_or_b32 v2, v2, 9, 0x7c00
	v_lshl_or_b32 v6, v6, 9, 0x7c00
	s_or_b32 vcc_lo, s0, vcc_lo
	v_add_co_ci_u32_e32 v9, vcc_lo, 0, v9, vcc_lo
	s_or_b32 vcc_lo, s2, s1
	v_add_co_ci_u32_e32 v4, vcc_lo, 0, v4, vcc_lo
	v_cmp_gt_i32_e32 vcc_lo, 31, v8
	v_cndmask_b32_e32 v9, 0x7c00, v9, vcc_lo
	v_cmp_gt_i32_e32 vcc_lo, 31, v10
	v_cndmask_b32_e32 v4, 0x7c00, v4, vcc_lo
	v_cmp_eq_u32_e32 vcc_lo, 0x40f, v8
	v_cndmask_b32_e32 v2, v9, v2, vcc_lo
	v_cmp_eq_u32_e32 vcc_lo, 0x40f, v10
	v_and_or_b32 v2, 0x8000, v5, v2
	v_cndmask_b32_e32 v4, v4, v6, vcc_lo
	v_add_co_u32 v0, vcc_lo, v0, s6
	v_add_co_ci_u32_e32 v1, vcc_lo, s7, v1, vcc_lo
	v_and_or_b32 v4, 0x8000, v7, v4
	v_and_b32_e32 v2, 0xffff, v2
	v_lshl_or_b32 v2, v4, 16, v2
	v_lshrrev_b32_e32 v4, 16, v3
	global_store_dword v[0:1], v2, off
	global_load_dword v2, v[24:25], off offset:80
	s_waitcnt vmcnt(0)
	v_mul_f16_sdwa v5, v4, v2 dst_sel:DWORD dst_unused:UNUSED_PAD src0_sel:DWORD src1_sel:WORD_1
	v_mul_f16_sdwa v6, v3, v2 dst_sel:DWORD dst_unused:UNUSED_PAD src0_sel:DWORD src1_sel:WORD_1
	v_fmac_f16_e32 v5, v3, v2
	v_fma_f16 v2, v2, v4, -v6
	v_cvt_f32_f16_e32 v3, v5
	v_cvt_f32_f16_e32 v4, v2
	v_cvt_f64_f32_e32 v[2:3], v3
	v_cvt_f64_f32_e32 v[4:5], v4
	v_mul_f64 v[2:3], v[2:3], s[4:5]
	v_mul_f64 v[4:5], v[4:5], s[4:5]
	v_and_or_b32 v2, 0x1ff, v3, v2
	v_and_or_b32 v4, 0x1ff, v5, v4
	v_lshrrev_b32_e32 v6, 8, v3
	v_bfe_u32 v7, v3, 20, 11
	v_lshrrev_b32_e32 v8, 8, v5
	v_cmp_ne_u32_e32 vcc_lo, 0, v2
	v_bfe_u32 v9, v5, 20, 11
	v_lshrrev_b32_e32 v3, 16, v3
	v_sub_nc_u32_e32 v10, 0x3f1, v7
	v_add_nc_u32_e32 v7, 0xfffffc10, v7
	v_cndmask_b32_e64 v2, 0, 1, vcc_lo
	v_cmp_ne_u32_e32 vcc_lo, 0, v4
	v_lshrrev_b32_e32 v5, 16, v5
	v_and_or_b32 v2, 0xffe, v6, v2
	v_cndmask_b32_e64 v4, 0, 1, vcc_lo
	v_sub_nc_u32_e32 v6, 0x3f1, v9
	v_add_nc_u32_e32 v9, 0xfffffc10, v9
	v_and_or_b32 v4, 0xffe, v8, v4
	v_med3_i32 v8, v10, 0, 13
	v_or_b32_e32 v10, 0x1000, v2
	v_med3_i32 v6, v6, 0, 13
	v_or_b32_e32 v11, 0x1000, v4
	v_lshrrev_b32_e32 v12, v8, v10
	v_lshrrev_b32_e32 v13, v6, v11
	v_lshlrev_b32_e32 v8, v8, v12
	v_lshlrev_b32_e32 v6, v6, v13
	v_cmp_ne_u32_e32 vcc_lo, v8, v10
	v_lshl_or_b32 v10, v7, 12, v2
	v_cndmask_b32_e64 v8, 0, 1, vcc_lo
	v_cmp_ne_u32_e32 vcc_lo, v6, v11
	v_lshl_or_b32 v11, v9, 12, v4
	v_or_b32_e32 v8, v12, v8
	v_cndmask_b32_e64 v6, 0, 1, vcc_lo
	v_cmp_gt_i32_e32 vcc_lo, 1, v7
	v_or_b32_e32 v6, v13, v6
	v_cndmask_b32_e32 v8, v10, v8, vcc_lo
	v_cmp_gt_i32_e32 vcc_lo, 1, v9
	v_and_b32_e32 v10, 7, v8
	v_cndmask_b32_e32 v6, v11, v6, vcc_lo
	v_cmp_ne_u32_e32 vcc_lo, 0, v2
	v_lshrrev_b32_e32 v8, 2, v8
	v_cmp_eq_u32_e64 s0, 3, v10
	v_and_b32_e32 v11, 7, v6
	v_cndmask_b32_e64 v2, 0, 1, vcc_lo
	v_cmp_ne_u32_e32 vcc_lo, 0, v4
	v_lshrrev_b32_e32 v6, 2, v6
	v_cmp_lt_i32_e64 s1, 5, v11
	v_cmp_eq_u32_e64 s2, 3, v11
	v_cndmask_b32_e64 v4, 0, 1, vcc_lo
	v_cmp_lt_i32_e32 vcc_lo, 5, v10
	v_lshl_or_b32 v2, v2, 9, 0x7c00
	v_lshl_or_b32 v4, v4, 9, 0x7c00
	s_or_b32 vcc_lo, s0, vcc_lo
	v_add_co_ci_u32_e32 v8, vcc_lo, 0, v8, vcc_lo
	s_or_b32 vcc_lo, s2, s1
	v_add_co_ci_u32_e32 v6, vcc_lo, 0, v6, vcc_lo
	v_cmp_gt_i32_e32 vcc_lo, 31, v7
	v_cndmask_b32_e32 v8, 0x7c00, v8, vcc_lo
	v_cmp_gt_i32_e32 vcc_lo, 31, v9
	v_cndmask_b32_e32 v6, 0x7c00, v6, vcc_lo
	v_cmp_eq_u32_e32 vcc_lo, 0x40f, v7
	v_cndmask_b32_e32 v2, v8, v2, vcc_lo
	v_cmp_eq_u32_e32 vcc_lo, 0x40f, v9
	v_and_or_b32 v2, 0x8000, v3, v2
	v_cndmask_b32_e32 v4, v6, v4, vcc_lo
	v_add_co_u32 v0, vcc_lo, v0, s6
	v_add_co_ci_u32_e32 v1, vcc_lo, s7, v1, vcc_lo
	v_and_or_b32 v3, 0x8000, v5, v4
	v_and_b32_e32 v2, 0xffff, v2
	v_lshl_or_b32 v2, v3, 16, v2
	global_store_dword v[0:1], v2, off
	global_load_dword v4, v[24:25], off offset:668
	ds_read2_b32 v[2:3], v30 offset0:39 offset1:186
	s_waitcnt lgkmcnt(0)
	v_lshrrev_b32_e32 v5, 16, v2
	s_waitcnt vmcnt(0)
	v_mul_f16_sdwa v6, v5, v4 dst_sel:DWORD dst_unused:UNUSED_PAD src0_sel:DWORD src1_sel:WORD_1
	v_mul_f16_sdwa v7, v2, v4 dst_sel:DWORD dst_unused:UNUSED_PAD src0_sel:DWORD src1_sel:WORD_1
	v_fmac_f16_e32 v6, v2, v4
	v_fma_f16 v2, v4, v5, -v7
	v_cvt_f32_f16_e32 v4, v6
	v_cvt_f32_f16_e32 v2, v2
	v_cvt_f64_f32_e32 v[4:5], v4
	v_cvt_f64_f32_e32 v[6:7], v2
	v_mul_f64 v[4:5], v[4:5], s[4:5]
	v_mul_f64 v[6:7], v[6:7], s[4:5]
	v_and_or_b32 v2, 0x1ff, v5, v4
	v_and_or_b32 v6, 0x1ff, v7, v6
	v_lshrrev_b32_e32 v4, 8, v5
	v_bfe_u32 v8, v5, 20, 11
	v_lshrrev_b32_e32 v9, 8, v7
	v_cmp_ne_u32_e32 vcc_lo, 0, v2
	v_bfe_u32 v10, v7, 20, 11
	v_lshrrev_b32_e32 v5, 16, v5
	v_sub_nc_u32_e32 v11, 0x3f1, v8
	v_add_nc_u32_e32 v8, 0xfffffc10, v8
	v_cndmask_b32_e64 v2, 0, 1, vcc_lo
	v_cmp_ne_u32_e32 vcc_lo, 0, v6
	v_lshrrev_b32_e32 v7, 16, v7
	v_and_or_b32 v2, 0xffe, v4, v2
	v_cndmask_b32_e64 v6, 0, 1, vcc_lo
	v_sub_nc_u32_e32 v4, 0x3f1, v10
	v_add_nc_u32_e32 v10, 0xfffffc10, v10
	v_and_or_b32 v6, 0xffe, v9, v6
	v_med3_i32 v9, v11, 0, 13
	v_or_b32_e32 v11, 0x1000, v2
	v_med3_i32 v4, v4, 0, 13
	v_or_b32_e32 v12, 0x1000, v6
	v_lshrrev_b32_e32 v13, v9, v11
	v_lshrrev_b32_e32 v14, v4, v12
	v_lshlrev_b32_e32 v9, v9, v13
	v_lshlrev_b32_e32 v4, v4, v14
	v_cmp_ne_u32_e32 vcc_lo, v9, v11
	v_lshl_or_b32 v11, v8, 12, v2
	v_cndmask_b32_e64 v9, 0, 1, vcc_lo
	v_cmp_ne_u32_e32 vcc_lo, v4, v12
	v_lshl_or_b32 v12, v10, 12, v6
	v_or_b32_e32 v9, v13, v9
	v_cndmask_b32_e64 v4, 0, 1, vcc_lo
	v_cmp_gt_i32_e32 vcc_lo, 1, v8
	v_or_b32_e32 v4, v14, v4
	v_cndmask_b32_e32 v9, v11, v9, vcc_lo
	v_cmp_gt_i32_e32 vcc_lo, 1, v10
	v_and_b32_e32 v11, 7, v9
	v_cndmask_b32_e32 v4, v12, v4, vcc_lo
	v_cmp_ne_u32_e32 vcc_lo, 0, v2
	v_lshrrev_b32_e32 v9, 2, v9
	v_cmp_eq_u32_e64 s0, 3, v11
	v_and_b32_e32 v12, 7, v4
	v_cndmask_b32_e64 v2, 0, 1, vcc_lo
	v_cmp_ne_u32_e32 vcc_lo, 0, v6
	v_lshrrev_b32_e32 v4, 2, v4
	v_cmp_lt_i32_e64 s1, 5, v12
	v_cmp_eq_u32_e64 s2, 3, v12
	v_cndmask_b32_e64 v6, 0, 1, vcc_lo
	v_cmp_lt_i32_e32 vcc_lo, 5, v11
	v_lshl_or_b32 v2, v2, 9, 0x7c00
	v_lshl_or_b32 v6, v6, 9, 0x7c00
	s_or_b32 vcc_lo, s0, vcc_lo
	v_add_co_ci_u32_e32 v9, vcc_lo, 0, v9, vcc_lo
	s_or_b32 vcc_lo, s2, s1
	v_add_co_ci_u32_e32 v4, vcc_lo, 0, v4, vcc_lo
	v_cmp_gt_i32_e32 vcc_lo, 31, v8
	v_cndmask_b32_e32 v9, 0x7c00, v9, vcc_lo
	v_cmp_gt_i32_e32 vcc_lo, 31, v10
	v_cndmask_b32_e32 v4, 0x7c00, v4, vcc_lo
	v_cmp_eq_u32_e32 vcc_lo, 0x40f, v8
	v_cndmask_b32_e32 v2, v9, v2, vcc_lo
	v_cmp_eq_u32_e32 vcc_lo, 0x40f, v10
	v_and_or_b32 v2, 0x8000, v5, v2
	v_cndmask_b32_e32 v4, v4, v6, vcc_lo
	v_add_co_u32 v0, vcc_lo, v0, s6
	v_add_co_ci_u32_e32 v1, vcc_lo, s7, v1, vcc_lo
	v_and_or_b32 v4, 0x8000, v7, v4
	v_and_b32_e32 v2, 0xffff, v2
	v_lshl_or_b32 v2, v4, 16, v2
	v_lshrrev_b32_e32 v4, 16, v3
	global_store_dword v[0:1], v2, off
	global_load_dword v2, v[24:25], off offset:1256
	s_waitcnt vmcnt(0)
	v_mul_f16_sdwa v5, v4, v2 dst_sel:DWORD dst_unused:UNUSED_PAD src0_sel:DWORD src1_sel:WORD_1
	v_mul_f16_sdwa v6, v3, v2 dst_sel:DWORD dst_unused:UNUSED_PAD src0_sel:DWORD src1_sel:WORD_1
	v_fmac_f16_e32 v5, v3, v2
	v_fma_f16 v2, v2, v4, -v6
	v_cvt_f32_f16_e32 v3, v5
	v_cvt_f32_f16_e32 v4, v2
	v_cvt_f64_f32_e32 v[2:3], v3
	v_cvt_f64_f32_e32 v[4:5], v4
	v_mul_f64 v[2:3], v[2:3], s[4:5]
	v_mul_f64 v[4:5], v[4:5], s[4:5]
	v_and_or_b32 v2, 0x1ff, v3, v2
	v_and_or_b32 v4, 0x1ff, v5, v4
	v_lshrrev_b32_e32 v6, 8, v3
	v_bfe_u32 v7, v3, 20, 11
	v_lshrrev_b32_e32 v8, 8, v5
	v_cmp_ne_u32_e32 vcc_lo, 0, v2
	v_bfe_u32 v9, v5, 20, 11
	v_lshrrev_b32_e32 v3, 16, v3
	v_sub_nc_u32_e32 v10, 0x3f1, v7
	v_add_nc_u32_e32 v7, 0xfffffc10, v7
	v_cndmask_b32_e64 v2, 0, 1, vcc_lo
	v_cmp_ne_u32_e32 vcc_lo, 0, v4
	v_lshrrev_b32_e32 v5, 16, v5
	v_and_or_b32 v2, 0xffe, v6, v2
	v_cndmask_b32_e64 v4, 0, 1, vcc_lo
	v_sub_nc_u32_e32 v6, 0x3f1, v9
	v_add_nc_u32_e32 v9, 0xfffffc10, v9
	v_and_or_b32 v4, 0xffe, v8, v4
	v_med3_i32 v8, v10, 0, 13
	v_or_b32_e32 v10, 0x1000, v2
	v_med3_i32 v6, v6, 0, 13
	v_or_b32_e32 v11, 0x1000, v4
	v_lshrrev_b32_e32 v12, v8, v10
	v_lshrrev_b32_e32 v13, v6, v11
	v_lshlrev_b32_e32 v8, v8, v12
	v_lshlrev_b32_e32 v6, v6, v13
	v_cmp_ne_u32_e32 vcc_lo, v8, v10
	v_lshl_or_b32 v10, v7, 12, v2
	v_cndmask_b32_e64 v8, 0, 1, vcc_lo
	v_cmp_ne_u32_e32 vcc_lo, v6, v11
	v_lshl_or_b32 v11, v9, 12, v4
	v_or_b32_e32 v8, v12, v8
	v_cndmask_b32_e64 v6, 0, 1, vcc_lo
	v_cmp_gt_i32_e32 vcc_lo, 1, v7
	v_or_b32_e32 v6, v13, v6
	v_cndmask_b32_e32 v8, v10, v8, vcc_lo
	v_cmp_gt_i32_e32 vcc_lo, 1, v9
	v_and_b32_e32 v10, 7, v8
	v_cndmask_b32_e32 v6, v11, v6, vcc_lo
	v_cmp_ne_u32_e32 vcc_lo, 0, v2
	v_lshrrev_b32_e32 v8, 2, v8
	v_cmp_eq_u32_e64 s0, 3, v10
	v_and_b32_e32 v11, 7, v6
	v_cndmask_b32_e64 v2, 0, 1, vcc_lo
	v_cmp_ne_u32_e32 vcc_lo, 0, v4
	v_lshrrev_b32_e32 v6, 2, v6
	v_cmp_lt_i32_e64 s1, 5, v11
	v_cmp_eq_u32_e64 s2, 3, v11
	v_cndmask_b32_e64 v4, 0, 1, vcc_lo
	v_cmp_lt_i32_e32 vcc_lo, 5, v10
	v_lshl_or_b32 v2, v2, 9, 0x7c00
	v_lshl_or_b32 v4, v4, 9, 0x7c00
	s_or_b32 vcc_lo, s0, vcc_lo
	v_add_co_ci_u32_e32 v8, vcc_lo, 0, v8, vcc_lo
	s_or_b32 vcc_lo, s2, s1
	v_add_co_ci_u32_e32 v6, vcc_lo, 0, v6, vcc_lo
	v_cmp_gt_i32_e32 vcc_lo, 31, v7
	v_cndmask_b32_e32 v8, 0x7c00, v8, vcc_lo
	v_cmp_gt_i32_e32 vcc_lo, 31, v9
	v_cndmask_b32_e32 v6, 0x7c00, v6, vcc_lo
	v_cmp_eq_u32_e32 vcc_lo, 0x40f, v7
	v_cndmask_b32_e32 v2, v8, v2, vcc_lo
	v_cmp_eq_u32_e32 vcc_lo, 0x40f, v9
	v_and_or_b32 v2, 0x8000, v3, v2
	v_cndmask_b32_e32 v4, v6, v4, vcc_lo
	v_add_co_u32 v0, vcc_lo, v0, s6
	v_add_co_ci_u32_e32 v1, vcc_lo, s7, v1, vcc_lo
	v_and_or_b32 v3, 0x8000, v5, v4
	v_and_b32_e32 v2, 0xffff, v2
	v_lshl_or_b32 v2, v3, 16, v2
	global_store_dword v[0:1], v2, off
	global_load_dword v4, v[24:25], off offset:1844
	v_add_nc_u32_e32 v2, 0xe00, v79
	ds_read2_b32 v[2:3], v2 offset0:77 offset1:224
	s_waitcnt lgkmcnt(0)
	v_lshrrev_b32_e32 v5, 16, v2
	s_waitcnt vmcnt(0)
	v_mul_f16_sdwa v6, v5, v4 dst_sel:DWORD dst_unused:UNUSED_PAD src0_sel:DWORD src1_sel:WORD_1
	v_mul_f16_sdwa v7, v2, v4 dst_sel:DWORD dst_unused:UNUSED_PAD src0_sel:DWORD src1_sel:WORD_1
	v_fmac_f16_e32 v6, v2, v4
	v_fma_f16 v2, v4, v5, -v7
	v_cvt_f32_f16_e32 v4, v6
	v_cvt_f32_f16_e32 v2, v2
	v_cvt_f64_f32_e32 v[4:5], v4
	v_cvt_f64_f32_e32 v[6:7], v2
	v_mul_f64 v[4:5], v[4:5], s[4:5]
	v_mul_f64 v[6:7], v[6:7], s[4:5]
	v_and_or_b32 v2, 0x1ff, v5, v4
	v_and_or_b32 v6, 0x1ff, v7, v6
	v_lshrrev_b32_e32 v4, 8, v5
	v_bfe_u32 v8, v5, 20, 11
	v_lshrrev_b32_e32 v9, 8, v7
	v_cmp_ne_u32_e32 vcc_lo, 0, v2
	v_bfe_u32 v10, v7, 20, 11
	v_lshrrev_b32_e32 v5, 16, v5
	v_sub_nc_u32_e32 v11, 0x3f1, v8
	v_add_nc_u32_e32 v8, 0xfffffc10, v8
	v_cndmask_b32_e64 v2, 0, 1, vcc_lo
	v_cmp_ne_u32_e32 vcc_lo, 0, v6
	v_lshrrev_b32_e32 v7, 16, v7
	v_and_or_b32 v2, 0xffe, v4, v2
	v_cndmask_b32_e64 v6, 0, 1, vcc_lo
	v_sub_nc_u32_e32 v4, 0x3f1, v10
	v_add_nc_u32_e32 v10, 0xfffffc10, v10
	v_and_or_b32 v6, 0xffe, v9, v6
	v_med3_i32 v9, v11, 0, 13
	v_or_b32_e32 v11, 0x1000, v2
	v_med3_i32 v4, v4, 0, 13
	v_or_b32_e32 v12, 0x1000, v6
	v_lshrrev_b32_e32 v13, v9, v11
	v_lshrrev_b32_e32 v14, v4, v12
	v_lshlrev_b32_e32 v9, v9, v13
	v_lshlrev_b32_e32 v4, v4, v14
	v_cmp_ne_u32_e32 vcc_lo, v9, v11
	v_lshl_or_b32 v11, v8, 12, v2
	v_cndmask_b32_e64 v9, 0, 1, vcc_lo
	v_cmp_ne_u32_e32 vcc_lo, v4, v12
	v_lshl_or_b32 v12, v10, 12, v6
	v_or_b32_e32 v9, v13, v9
	v_cndmask_b32_e64 v4, 0, 1, vcc_lo
	v_cmp_gt_i32_e32 vcc_lo, 1, v8
	v_or_b32_e32 v4, v14, v4
	v_cndmask_b32_e32 v9, v11, v9, vcc_lo
	v_cmp_gt_i32_e32 vcc_lo, 1, v10
	v_and_b32_e32 v11, 7, v9
	v_cndmask_b32_e32 v4, v12, v4, vcc_lo
	v_cmp_ne_u32_e32 vcc_lo, 0, v2
	v_lshrrev_b32_e32 v9, 2, v9
	v_cmp_eq_u32_e64 s0, 3, v11
	v_and_b32_e32 v12, 7, v4
	v_cndmask_b32_e64 v2, 0, 1, vcc_lo
	v_cmp_ne_u32_e32 vcc_lo, 0, v6
	v_lshrrev_b32_e32 v4, 2, v4
	v_cmp_lt_i32_e64 s1, 5, v12
	v_cmp_eq_u32_e64 s2, 3, v12
	v_cndmask_b32_e64 v6, 0, 1, vcc_lo
	v_cmp_lt_i32_e32 vcc_lo, 5, v11
	v_lshl_or_b32 v2, v2, 9, 0x7c00
	v_lshl_or_b32 v6, v6, 9, 0x7c00
	s_or_b32 vcc_lo, s0, vcc_lo
	v_add_co_ci_u32_e32 v9, vcc_lo, 0, v9, vcc_lo
	s_or_b32 vcc_lo, s2, s1
	v_add_co_ci_u32_e32 v4, vcc_lo, 0, v4, vcc_lo
	v_cmp_gt_i32_e32 vcc_lo, 31, v8
	v_cndmask_b32_e32 v9, 0x7c00, v9, vcc_lo
	v_cmp_gt_i32_e32 vcc_lo, 31, v10
	v_cndmask_b32_e32 v4, 0x7c00, v4, vcc_lo
	v_cmp_eq_u32_e32 vcc_lo, 0x40f, v8
	v_cndmask_b32_e32 v2, v9, v2, vcc_lo
	v_cmp_eq_u32_e32 vcc_lo, 0x40f, v10
	v_and_or_b32 v2, 0x8000, v5, v2
	v_cndmask_b32_e32 v4, v4, v6, vcc_lo
	v_add_co_u32 v0, vcc_lo, v0, s6
	v_add_co_ci_u32_e32 v1, vcc_lo, s7, v1, vcc_lo
	v_and_or_b32 v4, 0x8000, v7, v4
	v_and_b32_e32 v2, 0xffff, v2
	v_lshl_or_b32 v2, v4, 16, v2
	v_lshrrev_b32_e32 v4, 16, v3
	global_store_dword v[0:1], v2, off
	global_load_dword v2, v[22:23], off offset:384
	s_waitcnt vmcnt(0)
	v_mul_f16_sdwa v5, v4, v2 dst_sel:DWORD dst_unused:UNUSED_PAD src0_sel:DWORD src1_sel:WORD_1
	v_mul_f16_sdwa v6, v3, v2 dst_sel:DWORD dst_unused:UNUSED_PAD src0_sel:DWORD src1_sel:WORD_1
	v_fmac_f16_e32 v5, v3, v2
	v_fma_f16 v2, v2, v4, -v6
	v_cvt_f32_f16_e32 v3, v5
	v_cvt_f32_f16_e32 v4, v2
	v_cvt_f64_f32_e32 v[2:3], v3
	v_cvt_f64_f32_e32 v[4:5], v4
	v_mul_f64 v[2:3], v[2:3], s[4:5]
	v_mul_f64 v[4:5], v[4:5], s[4:5]
	v_and_or_b32 v2, 0x1ff, v3, v2
	v_and_or_b32 v4, 0x1ff, v5, v4
	v_lshrrev_b32_e32 v6, 8, v3
	v_bfe_u32 v7, v3, 20, 11
	v_lshrrev_b32_e32 v8, 8, v5
	v_cmp_ne_u32_e32 vcc_lo, 0, v2
	v_bfe_u32 v9, v5, 20, 11
	v_lshrrev_b32_e32 v3, 16, v3
	v_sub_nc_u32_e32 v10, 0x3f1, v7
	v_add_nc_u32_e32 v7, 0xfffffc10, v7
	v_cndmask_b32_e64 v2, 0, 1, vcc_lo
	v_cmp_ne_u32_e32 vcc_lo, 0, v4
	v_lshrrev_b32_e32 v5, 16, v5
	v_and_or_b32 v2, 0xffe, v6, v2
	v_cndmask_b32_e64 v4, 0, 1, vcc_lo
	v_sub_nc_u32_e32 v6, 0x3f1, v9
	v_add_nc_u32_e32 v9, 0xfffffc10, v9
	v_and_or_b32 v4, 0xffe, v8, v4
	v_med3_i32 v8, v10, 0, 13
	v_or_b32_e32 v10, 0x1000, v2
	v_med3_i32 v6, v6, 0, 13
	v_or_b32_e32 v11, 0x1000, v4
	v_lshrrev_b32_e32 v12, v8, v10
	v_lshrrev_b32_e32 v13, v6, v11
	v_lshlrev_b32_e32 v8, v8, v12
	v_lshlrev_b32_e32 v6, v6, v13
	v_cmp_ne_u32_e32 vcc_lo, v8, v10
	v_lshl_or_b32 v10, v7, 12, v2
	v_cndmask_b32_e64 v8, 0, 1, vcc_lo
	v_cmp_ne_u32_e32 vcc_lo, v6, v11
	v_lshl_or_b32 v11, v9, 12, v4
	v_or_b32_e32 v8, v12, v8
	v_cndmask_b32_e64 v6, 0, 1, vcc_lo
	v_cmp_gt_i32_e32 vcc_lo, 1, v7
	v_or_b32_e32 v6, v13, v6
	v_cndmask_b32_e32 v8, v10, v8, vcc_lo
	v_cmp_gt_i32_e32 vcc_lo, 1, v9
	v_and_b32_e32 v10, 7, v8
	v_cndmask_b32_e32 v6, v11, v6, vcc_lo
	v_cmp_ne_u32_e32 vcc_lo, 0, v2
	v_lshrrev_b32_e32 v8, 2, v8
	v_cmp_eq_u32_e64 s0, 3, v10
	v_and_b32_e32 v11, 7, v6
	v_cndmask_b32_e64 v2, 0, 1, vcc_lo
	v_cmp_ne_u32_e32 vcc_lo, 0, v4
	v_lshrrev_b32_e32 v6, 2, v6
	v_cmp_lt_i32_e64 s1, 5, v11
	v_cmp_eq_u32_e64 s2, 3, v11
	v_cndmask_b32_e64 v4, 0, 1, vcc_lo
	v_cmp_lt_i32_e32 vcc_lo, 5, v10
	v_lshl_or_b32 v2, v2, 9, 0x7c00
	v_lshl_or_b32 v4, v4, 9, 0x7c00
	s_or_b32 vcc_lo, s0, vcc_lo
	v_add_co_ci_u32_e32 v8, vcc_lo, 0, v8, vcc_lo
	s_or_b32 vcc_lo, s2, s1
	v_add_co_ci_u32_e32 v6, vcc_lo, 0, v6, vcc_lo
	v_cmp_gt_i32_e32 vcc_lo, 31, v7
	v_cndmask_b32_e32 v8, 0x7c00, v8, vcc_lo
	v_cmp_gt_i32_e32 vcc_lo, 31, v9
	v_cndmask_b32_e32 v6, 0x7c00, v6, vcc_lo
	v_cmp_eq_u32_e32 vcc_lo, 0x40f, v7
	v_cndmask_b32_e32 v2, v8, v2, vcc_lo
	v_cmp_eq_u32_e32 vcc_lo, 0x40f, v9
	v_and_or_b32 v2, 0x8000, v3, v2
	v_cndmask_b32_e32 v4, v6, v4, vcc_lo
	v_add_co_u32 v0, vcc_lo, v0, s6
	v_add_co_ci_u32_e32 v1, vcc_lo, s7, v1, vcc_lo
	v_and_or_b32 v3, 0x8000, v5, v4
	v_and_b32_e32 v2, 0xffff, v2
	v_lshl_or_b32 v2, v3, 16, v2
	global_store_dword v[0:1], v2, off
	global_load_dword v4, v[22:23], off offset:972
	v_add_nc_u32_e32 v2, 0x1300, v79
	ds_read2_b32 v[2:3], v2 offset0:51 offset1:198
	s_waitcnt lgkmcnt(0)
	v_lshrrev_b32_e32 v5, 16, v2
	s_waitcnt vmcnt(0)
	v_mul_f16_sdwa v6, v5, v4 dst_sel:DWORD dst_unused:UNUSED_PAD src0_sel:DWORD src1_sel:WORD_1
	v_mul_f16_sdwa v7, v2, v4 dst_sel:DWORD dst_unused:UNUSED_PAD src0_sel:DWORD src1_sel:WORD_1
	v_fmac_f16_e32 v6, v2, v4
	v_fma_f16 v2, v4, v5, -v7
	v_cvt_f32_f16_e32 v4, v6
	v_cvt_f32_f16_e32 v2, v2
	v_cvt_f64_f32_e32 v[4:5], v4
	v_cvt_f64_f32_e32 v[6:7], v2
	v_mul_f64 v[4:5], v[4:5], s[4:5]
	v_mul_f64 v[6:7], v[6:7], s[4:5]
	v_and_or_b32 v2, 0x1ff, v5, v4
	v_and_or_b32 v6, 0x1ff, v7, v6
	v_lshrrev_b32_e32 v4, 8, v5
	v_bfe_u32 v8, v5, 20, 11
	v_lshrrev_b32_e32 v9, 8, v7
	v_cmp_ne_u32_e32 vcc_lo, 0, v2
	v_bfe_u32 v10, v7, 20, 11
	v_lshrrev_b32_e32 v5, 16, v5
	v_sub_nc_u32_e32 v11, 0x3f1, v8
	v_add_nc_u32_e32 v8, 0xfffffc10, v8
	v_cndmask_b32_e64 v2, 0, 1, vcc_lo
	v_cmp_ne_u32_e32 vcc_lo, 0, v6
	v_lshrrev_b32_e32 v7, 16, v7
	v_and_or_b32 v2, 0xffe, v4, v2
	v_cndmask_b32_e64 v6, 0, 1, vcc_lo
	v_sub_nc_u32_e32 v4, 0x3f1, v10
	v_add_nc_u32_e32 v10, 0xfffffc10, v10
	v_and_or_b32 v6, 0xffe, v9, v6
	v_med3_i32 v9, v11, 0, 13
	v_or_b32_e32 v11, 0x1000, v2
	v_med3_i32 v4, v4, 0, 13
	v_or_b32_e32 v12, 0x1000, v6
	v_lshrrev_b32_e32 v13, v9, v11
	v_lshrrev_b32_e32 v14, v4, v12
	v_lshlrev_b32_e32 v9, v9, v13
	v_lshlrev_b32_e32 v4, v4, v14
	v_cmp_ne_u32_e32 vcc_lo, v9, v11
	v_lshl_or_b32 v11, v8, 12, v2
	v_cndmask_b32_e64 v9, 0, 1, vcc_lo
	v_cmp_ne_u32_e32 vcc_lo, v4, v12
	v_lshl_or_b32 v12, v10, 12, v6
	v_or_b32_e32 v9, v13, v9
	v_cndmask_b32_e64 v4, 0, 1, vcc_lo
	v_cmp_gt_i32_e32 vcc_lo, 1, v8
	v_or_b32_e32 v4, v14, v4
	v_cndmask_b32_e32 v9, v11, v9, vcc_lo
	v_cmp_gt_i32_e32 vcc_lo, 1, v10
	v_and_b32_e32 v11, 7, v9
	v_cndmask_b32_e32 v4, v12, v4, vcc_lo
	v_cmp_ne_u32_e32 vcc_lo, 0, v2
	v_lshrrev_b32_e32 v9, 2, v9
	v_cmp_eq_u32_e64 s0, 3, v11
	v_and_b32_e32 v12, 7, v4
	v_cndmask_b32_e64 v2, 0, 1, vcc_lo
	v_cmp_ne_u32_e32 vcc_lo, 0, v6
	v_lshrrev_b32_e32 v4, 2, v4
	v_cmp_lt_i32_e64 s1, 5, v12
	v_cmp_eq_u32_e64 s2, 3, v12
	v_cndmask_b32_e64 v6, 0, 1, vcc_lo
	v_cmp_lt_i32_e32 vcc_lo, 5, v11
	v_lshl_or_b32 v2, v2, 9, 0x7c00
	v_lshl_or_b32 v6, v6, 9, 0x7c00
	s_or_b32 vcc_lo, s0, vcc_lo
	v_add_co_ci_u32_e32 v9, vcc_lo, 0, v9, vcc_lo
	s_or_b32 vcc_lo, s2, s1
	v_add_co_ci_u32_e32 v4, vcc_lo, 0, v4, vcc_lo
	v_cmp_gt_i32_e32 vcc_lo, 31, v8
	v_cndmask_b32_e32 v9, 0x7c00, v9, vcc_lo
	v_cmp_gt_i32_e32 vcc_lo, 31, v10
	v_cndmask_b32_e32 v4, 0x7c00, v4, vcc_lo
	v_cmp_eq_u32_e32 vcc_lo, 0x40f, v8
	v_cndmask_b32_e32 v2, v9, v2, vcc_lo
	v_cmp_eq_u32_e32 vcc_lo, 0x40f, v10
	v_and_or_b32 v2, 0x8000, v5, v2
	v_cndmask_b32_e32 v4, v4, v6, vcc_lo
	v_add_co_u32 v0, vcc_lo, v0, s6
	v_add_co_ci_u32_e32 v1, vcc_lo, s7, v1, vcc_lo
	v_and_or_b32 v4, 0x8000, v7, v4
	v_and_b32_e32 v2, 0xffff, v2
	v_lshl_or_b32 v2, v4, 16, v2
	v_lshrrev_b32_e32 v4, 16, v3
	global_store_dword v[0:1], v2, off
	global_load_dword v2, v[22:23], off offset:1560
	s_waitcnt vmcnt(0)
	v_mul_f16_sdwa v5, v4, v2 dst_sel:DWORD dst_unused:UNUSED_PAD src0_sel:DWORD src1_sel:WORD_1
	v_mul_f16_sdwa v6, v3, v2 dst_sel:DWORD dst_unused:UNUSED_PAD src0_sel:DWORD src1_sel:WORD_1
	v_fmac_f16_e32 v5, v3, v2
	v_fma_f16 v2, v2, v4, -v6
	v_cvt_f32_f16_e32 v3, v5
	v_cvt_f32_f16_e32 v4, v2
	v_cvt_f64_f32_e32 v[2:3], v3
	v_cvt_f64_f32_e32 v[4:5], v4
	v_mul_f64 v[2:3], v[2:3], s[4:5]
	v_mul_f64 v[4:5], v[4:5], s[4:5]
	v_and_or_b32 v2, 0x1ff, v3, v2
	v_and_or_b32 v4, 0x1ff, v5, v4
	v_lshrrev_b32_e32 v6, 8, v3
	v_bfe_u32 v7, v3, 20, 11
	v_lshrrev_b32_e32 v8, 8, v5
	v_cmp_ne_u32_e32 vcc_lo, 0, v2
	v_bfe_u32 v9, v5, 20, 11
	v_lshrrev_b32_e32 v3, 16, v3
	v_sub_nc_u32_e32 v10, 0x3f1, v7
	v_add_nc_u32_e32 v7, 0xfffffc10, v7
	v_cndmask_b32_e64 v2, 0, 1, vcc_lo
	v_cmp_ne_u32_e32 vcc_lo, 0, v4
	v_lshrrev_b32_e32 v5, 16, v5
	v_and_or_b32 v2, 0xffe, v6, v2
	v_cndmask_b32_e64 v4, 0, 1, vcc_lo
	v_sub_nc_u32_e32 v6, 0x3f1, v9
	v_add_nc_u32_e32 v9, 0xfffffc10, v9
	v_and_or_b32 v4, 0xffe, v8, v4
	v_med3_i32 v8, v10, 0, 13
	v_or_b32_e32 v10, 0x1000, v2
	v_med3_i32 v6, v6, 0, 13
	v_or_b32_e32 v11, 0x1000, v4
	v_lshrrev_b32_e32 v12, v8, v10
	v_lshrrev_b32_e32 v13, v6, v11
	v_lshlrev_b32_e32 v8, v8, v12
	v_lshlrev_b32_e32 v6, v6, v13
	v_cmp_ne_u32_e32 vcc_lo, v8, v10
	v_lshl_or_b32 v10, v7, 12, v2
	v_cndmask_b32_e64 v8, 0, 1, vcc_lo
	v_cmp_ne_u32_e32 vcc_lo, v6, v11
	v_lshl_or_b32 v11, v9, 12, v4
	v_or_b32_e32 v8, v12, v8
	v_cndmask_b32_e64 v6, 0, 1, vcc_lo
	v_cmp_gt_i32_e32 vcc_lo, 1, v7
	v_or_b32_e32 v6, v13, v6
	v_cndmask_b32_e32 v8, v10, v8, vcc_lo
	v_cmp_gt_i32_e32 vcc_lo, 1, v9
	v_and_b32_e32 v10, 7, v8
	v_cndmask_b32_e32 v6, v11, v6, vcc_lo
	v_cmp_ne_u32_e32 vcc_lo, 0, v2
	v_lshrrev_b32_e32 v8, 2, v8
	v_cmp_eq_u32_e64 s0, 3, v10
	v_and_b32_e32 v11, 7, v6
	v_cndmask_b32_e64 v2, 0, 1, vcc_lo
	v_cmp_ne_u32_e32 vcc_lo, 0, v4
	v_lshrrev_b32_e32 v6, 2, v6
	v_cmp_lt_i32_e64 s1, 5, v11
	v_cmp_eq_u32_e64 s2, 3, v11
	v_cndmask_b32_e64 v4, 0, 1, vcc_lo
	v_cmp_lt_i32_e32 vcc_lo, 5, v10
	v_lshl_or_b32 v2, v2, 9, 0x7c00
	v_lshl_or_b32 v4, v4, 9, 0x7c00
	s_or_b32 vcc_lo, s0, vcc_lo
	v_add_co_ci_u32_e32 v8, vcc_lo, 0, v8, vcc_lo
	s_or_b32 vcc_lo, s2, s1
	v_add_co_ci_u32_e32 v6, vcc_lo, 0, v6, vcc_lo
	v_cmp_gt_i32_e32 vcc_lo, 31, v7
	v_cndmask_b32_e32 v8, 0x7c00, v8, vcc_lo
	v_cmp_gt_i32_e32 vcc_lo, 31, v9
	v_cndmask_b32_e32 v6, 0x7c00, v6, vcc_lo
	v_cmp_eq_u32_e32 vcc_lo, 0x40f, v7
	v_cndmask_b32_e32 v2, v8, v2, vcc_lo
	v_cmp_eq_u32_e32 vcc_lo, 0x40f, v9
	v_and_or_b32 v2, 0x8000, v3, v2
	v_cndmask_b32_e32 v4, v6, v4, vcc_lo
	v_add_co_u32 v0, vcc_lo, v0, s6
	v_add_co_ci_u32_e32 v1, vcc_lo, s7, v1, vcc_lo
	v_and_or_b32 v3, 0x8000, v5, v4
	v_and_b32_e32 v2, 0xffff, v2
	v_lshl_or_b32 v2, v3, 16, v2
	global_store_dword v[0:1], v2, off
	global_load_dword v4, v[20:21], off offset:100
	ds_read2_b32 v[2:3], v29 offset0:25 offset1:172
	s_waitcnt lgkmcnt(0)
	v_lshrrev_b32_e32 v5, 16, v2
	s_waitcnt vmcnt(0)
	v_mul_f16_sdwa v6, v5, v4 dst_sel:DWORD dst_unused:UNUSED_PAD src0_sel:DWORD src1_sel:WORD_1
	v_mul_f16_sdwa v7, v2, v4 dst_sel:DWORD dst_unused:UNUSED_PAD src0_sel:DWORD src1_sel:WORD_1
	v_fmac_f16_e32 v6, v2, v4
	v_fma_f16 v2, v4, v5, -v7
	v_cvt_f32_f16_e32 v4, v6
	v_cvt_f32_f16_e32 v2, v2
	v_cvt_f64_f32_e32 v[4:5], v4
	v_cvt_f64_f32_e32 v[6:7], v2
	v_mul_f64 v[4:5], v[4:5], s[4:5]
	v_mul_f64 v[6:7], v[6:7], s[4:5]
	v_and_or_b32 v2, 0x1ff, v5, v4
	v_and_or_b32 v6, 0x1ff, v7, v6
	v_lshrrev_b32_e32 v4, 8, v5
	v_bfe_u32 v8, v5, 20, 11
	v_lshrrev_b32_e32 v9, 8, v7
	v_cmp_ne_u32_e32 vcc_lo, 0, v2
	v_bfe_u32 v10, v7, 20, 11
	v_lshrrev_b32_e32 v5, 16, v5
	v_sub_nc_u32_e32 v11, 0x3f1, v8
	v_add_nc_u32_e32 v8, 0xfffffc10, v8
	v_cndmask_b32_e64 v2, 0, 1, vcc_lo
	v_cmp_ne_u32_e32 vcc_lo, 0, v6
	v_lshrrev_b32_e32 v7, 16, v7
	v_and_or_b32 v2, 0xffe, v4, v2
	v_cndmask_b32_e64 v6, 0, 1, vcc_lo
	v_sub_nc_u32_e32 v4, 0x3f1, v10
	v_add_nc_u32_e32 v10, 0xfffffc10, v10
	v_and_or_b32 v6, 0xffe, v9, v6
	v_med3_i32 v9, v11, 0, 13
	v_or_b32_e32 v11, 0x1000, v2
	v_med3_i32 v4, v4, 0, 13
	v_or_b32_e32 v12, 0x1000, v6
	v_lshrrev_b32_e32 v13, v9, v11
	v_lshrrev_b32_e32 v14, v4, v12
	v_lshlrev_b32_e32 v9, v9, v13
	v_lshlrev_b32_e32 v4, v4, v14
	v_cmp_ne_u32_e32 vcc_lo, v9, v11
	v_lshl_or_b32 v11, v8, 12, v2
	v_cndmask_b32_e64 v9, 0, 1, vcc_lo
	v_cmp_ne_u32_e32 vcc_lo, v4, v12
	v_lshl_or_b32 v12, v10, 12, v6
	v_or_b32_e32 v9, v13, v9
	v_cndmask_b32_e64 v4, 0, 1, vcc_lo
	v_cmp_gt_i32_e32 vcc_lo, 1, v8
	v_or_b32_e32 v4, v14, v4
	v_cndmask_b32_e32 v9, v11, v9, vcc_lo
	v_cmp_gt_i32_e32 vcc_lo, 1, v10
	v_and_b32_e32 v11, 7, v9
	v_cndmask_b32_e32 v4, v12, v4, vcc_lo
	v_cmp_ne_u32_e32 vcc_lo, 0, v2
	v_lshrrev_b32_e32 v9, 2, v9
	v_cmp_eq_u32_e64 s0, 3, v11
	v_and_b32_e32 v12, 7, v4
	v_cndmask_b32_e64 v2, 0, 1, vcc_lo
	v_cmp_ne_u32_e32 vcc_lo, 0, v6
	v_lshrrev_b32_e32 v4, 2, v4
	v_cmp_lt_i32_e64 s1, 5, v12
	v_cmp_eq_u32_e64 s2, 3, v12
	v_cndmask_b32_e64 v6, 0, 1, vcc_lo
	v_cmp_lt_i32_e32 vcc_lo, 5, v11
	v_lshl_or_b32 v2, v2, 9, 0x7c00
	v_lshl_or_b32 v6, v6, 9, 0x7c00
	s_or_b32 vcc_lo, s0, vcc_lo
	v_add_co_ci_u32_e32 v9, vcc_lo, 0, v9, vcc_lo
	s_or_b32 vcc_lo, s2, s1
	v_add_co_ci_u32_e32 v4, vcc_lo, 0, v4, vcc_lo
	v_cmp_gt_i32_e32 vcc_lo, 31, v8
	v_cndmask_b32_e32 v9, 0x7c00, v9, vcc_lo
	v_cmp_gt_i32_e32 vcc_lo, 31, v10
	v_cndmask_b32_e32 v4, 0x7c00, v4, vcc_lo
	v_cmp_eq_u32_e32 vcc_lo, 0x40f, v8
	v_cndmask_b32_e32 v2, v9, v2, vcc_lo
	v_cmp_eq_u32_e32 vcc_lo, 0x40f, v10
	v_and_or_b32 v2, 0x8000, v5, v2
	v_cndmask_b32_e32 v4, v4, v6, vcc_lo
	v_add_co_u32 v0, vcc_lo, v0, s6
	v_add_co_ci_u32_e32 v1, vcc_lo, s7, v1, vcc_lo
	v_and_or_b32 v4, 0x8000, v7, v4
	v_and_b32_e32 v2, 0xffff, v2
	v_lshl_or_b32 v2, v4, 16, v2
	v_lshrrev_b32_e32 v4, 16, v3
	global_store_dword v[0:1], v2, off
	global_load_dword v2, v[20:21], off offset:688
	s_waitcnt vmcnt(0)
	v_mul_f16_sdwa v5, v4, v2 dst_sel:DWORD dst_unused:UNUSED_PAD src0_sel:DWORD src1_sel:WORD_1
	v_mul_f16_sdwa v6, v3, v2 dst_sel:DWORD dst_unused:UNUSED_PAD src0_sel:DWORD src1_sel:WORD_1
	v_fmac_f16_e32 v5, v3, v2
	v_fma_f16 v2, v2, v4, -v6
	v_cvt_f32_f16_e32 v3, v5
	v_cvt_f32_f16_e32 v4, v2
	v_cvt_f64_f32_e32 v[2:3], v3
	v_cvt_f64_f32_e32 v[4:5], v4
	v_mul_f64 v[2:3], v[2:3], s[4:5]
	v_mul_f64 v[4:5], v[4:5], s[4:5]
	v_and_or_b32 v2, 0x1ff, v3, v2
	v_and_or_b32 v4, 0x1ff, v5, v4
	v_lshrrev_b32_e32 v6, 8, v3
	v_bfe_u32 v7, v3, 20, 11
	v_lshrrev_b32_e32 v8, 8, v5
	v_cmp_ne_u32_e32 vcc_lo, 0, v2
	v_bfe_u32 v9, v5, 20, 11
	v_lshrrev_b32_e32 v3, 16, v3
	v_sub_nc_u32_e32 v10, 0x3f1, v7
	v_add_nc_u32_e32 v7, 0xfffffc10, v7
	v_cndmask_b32_e64 v2, 0, 1, vcc_lo
	v_cmp_ne_u32_e32 vcc_lo, 0, v4
	v_lshrrev_b32_e32 v5, 16, v5
	v_and_or_b32 v2, 0xffe, v6, v2
	v_cndmask_b32_e64 v4, 0, 1, vcc_lo
	v_sub_nc_u32_e32 v6, 0x3f1, v9
	v_add_nc_u32_e32 v9, 0xfffffc10, v9
	v_and_or_b32 v4, 0xffe, v8, v4
	v_med3_i32 v8, v10, 0, 13
	v_or_b32_e32 v10, 0x1000, v2
	v_med3_i32 v6, v6, 0, 13
	v_or_b32_e32 v11, 0x1000, v4
	v_lshrrev_b32_e32 v12, v8, v10
	v_lshrrev_b32_e32 v13, v6, v11
	v_lshlrev_b32_e32 v8, v8, v12
	v_lshlrev_b32_e32 v6, v6, v13
	v_cmp_ne_u32_e32 vcc_lo, v8, v10
	v_lshl_or_b32 v10, v7, 12, v2
	v_cndmask_b32_e64 v8, 0, 1, vcc_lo
	v_cmp_ne_u32_e32 vcc_lo, v6, v11
	v_lshl_or_b32 v11, v9, 12, v4
	v_or_b32_e32 v8, v12, v8
	v_cndmask_b32_e64 v6, 0, 1, vcc_lo
	v_cmp_gt_i32_e32 vcc_lo, 1, v7
	v_or_b32_e32 v6, v13, v6
	v_cndmask_b32_e32 v8, v10, v8, vcc_lo
	v_cmp_gt_i32_e32 vcc_lo, 1, v9
	v_and_b32_e32 v10, 7, v8
	v_cndmask_b32_e32 v6, v11, v6, vcc_lo
	v_cmp_ne_u32_e32 vcc_lo, 0, v2
	v_lshrrev_b32_e32 v8, 2, v8
	v_cmp_eq_u32_e64 s0, 3, v10
	v_and_b32_e32 v11, 7, v6
	v_cndmask_b32_e64 v2, 0, 1, vcc_lo
	v_cmp_ne_u32_e32 vcc_lo, 0, v4
	v_lshrrev_b32_e32 v6, 2, v6
	v_cmp_lt_i32_e64 s1, 5, v11
	v_cmp_eq_u32_e64 s2, 3, v11
	v_cndmask_b32_e64 v4, 0, 1, vcc_lo
	v_cmp_lt_i32_e32 vcc_lo, 5, v10
	v_lshl_or_b32 v2, v2, 9, 0x7c00
	v_lshl_or_b32 v4, v4, 9, 0x7c00
	s_or_b32 vcc_lo, s0, vcc_lo
	v_add_co_ci_u32_e32 v8, vcc_lo, 0, v8, vcc_lo
	s_or_b32 vcc_lo, s2, s1
	v_add_co_ci_u32_e32 v6, vcc_lo, 0, v6, vcc_lo
	v_cmp_gt_i32_e32 vcc_lo, 31, v7
	v_cndmask_b32_e32 v8, 0x7c00, v8, vcc_lo
	v_cmp_gt_i32_e32 vcc_lo, 31, v9
	v_cndmask_b32_e32 v6, 0x7c00, v6, vcc_lo
	v_cmp_eq_u32_e32 vcc_lo, 0x40f, v7
	v_cndmask_b32_e32 v2, v8, v2, vcc_lo
	v_cmp_eq_u32_e32 vcc_lo, 0x40f, v9
	v_and_or_b32 v2, 0x8000, v3, v2
	v_cndmask_b32_e32 v4, v6, v4, vcc_lo
	v_add_co_u32 v0, vcc_lo, v0, s6
	v_add_co_ci_u32_e32 v1, vcc_lo, s7, v1, vcc_lo
	v_and_or_b32 v3, 0x8000, v5, v4
	v_and_b32_e32 v2, 0xffff, v2
	v_lshl_or_b32 v2, v3, 16, v2
	ds_read_b32 v3, v79 offset:7420
	global_store_dword v[0:1], v2, off
	global_load_dword v2, v[20:21], off offset:1276
	s_waitcnt lgkmcnt(0)
	v_lshrrev_b32_e32 v4, 16, v3
	s_waitcnt vmcnt(0)
	v_mul_f16_sdwa v5, v4, v2 dst_sel:DWORD dst_unused:UNUSED_PAD src0_sel:DWORD src1_sel:WORD_1
	v_mul_f16_sdwa v6, v3, v2 dst_sel:DWORD dst_unused:UNUSED_PAD src0_sel:DWORD src1_sel:WORD_1
	v_fmac_f16_e32 v5, v3, v2
	v_fma_f16 v2, v2, v4, -v6
	v_cvt_f32_f16_e32 v3, v5
	v_cvt_f32_f16_e32 v4, v2
	v_cvt_f64_f32_e32 v[2:3], v3
	v_cvt_f64_f32_e32 v[4:5], v4
	v_mul_f64 v[2:3], v[2:3], s[4:5]
	v_mul_f64 v[4:5], v[4:5], s[4:5]
	v_and_or_b32 v2, 0x1ff, v3, v2
	v_and_or_b32 v4, 0x1ff, v5, v4
	v_lshrrev_b32_e32 v6, 8, v3
	v_bfe_u32 v7, v3, 20, 11
	v_lshrrev_b32_e32 v8, 8, v5
	v_cmp_ne_u32_e32 vcc_lo, 0, v2
	v_bfe_u32 v9, v5, 20, 11
	v_lshrrev_b32_e32 v3, 16, v3
	v_sub_nc_u32_e32 v10, 0x3f1, v7
	v_add_nc_u32_e32 v7, 0xfffffc10, v7
	v_cndmask_b32_e64 v2, 0, 1, vcc_lo
	v_cmp_ne_u32_e32 vcc_lo, 0, v4
	v_lshrrev_b32_e32 v5, 16, v5
	v_and_or_b32 v2, 0xffe, v6, v2
	v_cndmask_b32_e64 v4, 0, 1, vcc_lo
	v_sub_nc_u32_e32 v6, 0x3f1, v9
	v_add_nc_u32_e32 v9, 0xfffffc10, v9
	v_and_or_b32 v4, 0xffe, v8, v4
	v_med3_i32 v8, v10, 0, 13
	v_or_b32_e32 v10, 0x1000, v2
	v_med3_i32 v6, v6, 0, 13
	v_or_b32_e32 v11, 0x1000, v4
	v_lshrrev_b32_e32 v12, v8, v10
	v_lshrrev_b32_e32 v13, v6, v11
	v_lshlrev_b32_e32 v8, v8, v12
	v_lshlrev_b32_e32 v6, v6, v13
	v_cmp_ne_u32_e32 vcc_lo, v8, v10
	v_lshl_or_b32 v10, v7, 12, v2
	v_cndmask_b32_e64 v8, 0, 1, vcc_lo
	v_cmp_ne_u32_e32 vcc_lo, v6, v11
	v_lshl_or_b32 v11, v9, 12, v4
	v_or_b32_e32 v8, v12, v8
	v_cndmask_b32_e64 v6, 0, 1, vcc_lo
	v_cmp_gt_i32_e32 vcc_lo, 1, v7
	v_or_b32_e32 v6, v13, v6
	v_cndmask_b32_e32 v8, v10, v8, vcc_lo
	v_cmp_gt_i32_e32 vcc_lo, 1, v9
	v_and_b32_e32 v10, 7, v8
	v_cndmask_b32_e32 v6, v11, v6, vcc_lo
	v_cmp_ne_u32_e32 vcc_lo, 0, v2
	v_lshrrev_b32_e32 v8, 2, v8
	v_cmp_eq_u32_e64 s0, 3, v10
	v_and_b32_e32 v11, 7, v6
	v_cndmask_b32_e64 v2, 0, 1, vcc_lo
	v_cmp_ne_u32_e32 vcc_lo, 0, v4
	v_lshrrev_b32_e32 v6, 2, v6
	v_cmp_lt_i32_e64 s1, 5, v11
	v_cmp_eq_u32_e64 s2, 3, v11
	v_cndmask_b32_e64 v4, 0, 1, vcc_lo
	v_cmp_lt_i32_e32 vcc_lo, 5, v10
	v_lshl_or_b32 v2, v2, 9, 0x7c00
	v_lshl_or_b32 v4, v4, 9, 0x7c00
	s_or_b32 vcc_lo, s0, vcc_lo
	v_add_co_ci_u32_e32 v8, vcc_lo, 0, v8, vcc_lo
	s_or_b32 vcc_lo, s2, s1
	v_add_co_ci_u32_e32 v6, vcc_lo, 0, v6, vcc_lo
	v_cmp_gt_i32_e32 vcc_lo, 31, v7
	v_cndmask_b32_e32 v8, 0x7c00, v8, vcc_lo
	v_cmp_gt_i32_e32 vcc_lo, 31, v9
	v_cndmask_b32_e32 v6, 0x7c00, v6, vcc_lo
	v_cmp_eq_u32_e32 vcc_lo, 0x40f, v7
	v_cndmask_b32_e32 v2, v8, v2, vcc_lo
	v_cmp_eq_u32_e32 vcc_lo, 0x40f, v9
	v_and_or_b32 v2, 0x8000, v3, v2
	v_cndmask_b32_e32 v4, v6, v4, vcc_lo
	v_add_co_u32 v0, vcc_lo, v0, s6
	v_add_co_ci_u32_e32 v1, vcc_lo, s7, v1, vcc_lo
	v_and_or_b32 v3, 0x8000, v5, v4
	v_and_b32_e32 v2, 0xffff, v2
	v_lshl_or_b32 v2, v3, 16, v2
	global_store_dword v[0:1], v2, off
.LBB0_15:
	s_endpgm
	.section	.rodata,"a",@progbits
	.p2align	6, 0x0
	.amdhsa_kernel bluestein_single_fwd_len1911_dim1_half_op_CI_CI
		.amdhsa_group_segment_fixed_size 7644
		.amdhsa_private_segment_fixed_size 0
		.amdhsa_kernarg_size 104
		.amdhsa_user_sgpr_count 6
		.amdhsa_user_sgpr_private_segment_buffer 1
		.amdhsa_user_sgpr_dispatch_ptr 0
		.amdhsa_user_sgpr_queue_ptr 0
		.amdhsa_user_sgpr_kernarg_segment_ptr 1
		.amdhsa_user_sgpr_dispatch_id 0
		.amdhsa_user_sgpr_flat_scratch_init 0
		.amdhsa_user_sgpr_private_segment_size 0
		.amdhsa_wavefront_size32 1
		.amdhsa_uses_dynamic_stack 0
		.amdhsa_system_sgpr_private_segment_wavefront_offset 0
		.amdhsa_system_sgpr_workgroup_id_x 1
		.amdhsa_system_sgpr_workgroup_id_y 0
		.amdhsa_system_sgpr_workgroup_id_z 0
		.amdhsa_system_sgpr_workgroup_info 0
		.amdhsa_system_vgpr_workitem_id 0
		.amdhsa_next_free_vgpr 197
		.amdhsa_next_free_sgpr 16
		.amdhsa_reserve_vcc 1
		.amdhsa_reserve_flat_scratch 0
		.amdhsa_float_round_mode_32 0
		.amdhsa_float_round_mode_16_64 0
		.amdhsa_float_denorm_mode_32 3
		.amdhsa_float_denorm_mode_16_64 3
		.amdhsa_dx10_clamp 1
		.amdhsa_ieee_mode 1
		.amdhsa_fp16_overflow 0
		.amdhsa_workgroup_processor_mode 1
		.amdhsa_memory_ordered 1
		.amdhsa_forward_progress 0
		.amdhsa_shared_vgpr_count 0
		.amdhsa_exception_fp_ieee_invalid_op 0
		.amdhsa_exception_fp_denorm_src 0
		.amdhsa_exception_fp_ieee_div_zero 0
		.amdhsa_exception_fp_ieee_overflow 0
		.amdhsa_exception_fp_ieee_underflow 0
		.amdhsa_exception_fp_ieee_inexact 0
		.amdhsa_exception_int_div_zero 0
	.end_amdhsa_kernel
	.text
.Lfunc_end0:
	.size	bluestein_single_fwd_len1911_dim1_half_op_CI_CI, .Lfunc_end0-bluestein_single_fwd_len1911_dim1_half_op_CI_CI
                                        ; -- End function
	.section	.AMDGPU.csdata,"",@progbits
; Kernel info:
; codeLenInByte = 45540
; NumSgprs: 18
; NumVgprs: 197
; ScratchSize: 0
; MemoryBound: 0
; FloatMode: 240
; IeeeMode: 1
; LDSByteSize: 7644 bytes/workgroup (compile time only)
; SGPRBlocks: 2
; VGPRBlocks: 24
; NumSGPRsForWavesPerEU: 18
; NumVGPRsForWavesPerEU: 197
; Occupancy: 4
; WaveLimiterHint : 1
; COMPUTE_PGM_RSRC2:SCRATCH_EN: 0
; COMPUTE_PGM_RSRC2:USER_SGPR: 6
; COMPUTE_PGM_RSRC2:TRAP_HANDLER: 0
; COMPUTE_PGM_RSRC2:TGID_X_EN: 1
; COMPUTE_PGM_RSRC2:TGID_Y_EN: 0
; COMPUTE_PGM_RSRC2:TGID_Z_EN: 0
; COMPUTE_PGM_RSRC2:TIDIG_COMP_CNT: 0
	.text
	.p2alignl 6, 3214868480
	.fill 48, 4, 3214868480
	.type	__hip_cuid_77bbf0a9d8d03cf3,@object ; @__hip_cuid_77bbf0a9d8d03cf3
	.section	.bss,"aw",@nobits
	.globl	__hip_cuid_77bbf0a9d8d03cf3
__hip_cuid_77bbf0a9d8d03cf3:
	.byte	0                               ; 0x0
	.size	__hip_cuid_77bbf0a9d8d03cf3, 1

	.ident	"AMD clang version 19.0.0git (https://github.com/RadeonOpenCompute/llvm-project roc-6.4.0 25133 c7fe45cf4b819c5991fe208aaa96edf142730f1d)"
	.section	".note.GNU-stack","",@progbits
	.addrsig
	.addrsig_sym __hip_cuid_77bbf0a9d8d03cf3
	.amdgpu_metadata
---
amdhsa.kernels:
  - .args:
      - .actual_access:  read_only
        .address_space:  global
        .offset:         0
        .size:           8
        .value_kind:     global_buffer
      - .actual_access:  read_only
        .address_space:  global
        .offset:         8
        .size:           8
        .value_kind:     global_buffer
      - .actual_access:  read_only
        .address_space:  global
        .offset:         16
        .size:           8
        .value_kind:     global_buffer
      - .actual_access:  read_only
        .address_space:  global
        .offset:         24
        .size:           8
        .value_kind:     global_buffer
      - .actual_access:  read_only
        .address_space:  global
        .offset:         32
        .size:           8
        .value_kind:     global_buffer
      - .offset:         40
        .size:           8
        .value_kind:     by_value
      - .address_space:  global
        .offset:         48
        .size:           8
        .value_kind:     global_buffer
      - .address_space:  global
        .offset:         56
        .size:           8
        .value_kind:     global_buffer
      - .address_space:  global
        .offset:         64
        .size:           8
        .value_kind:     global_buffer
      - .address_space:  global
        .offset:         72
        .size:           8
        .value_kind:     global_buffer
      - .offset:         80
        .size:           4
        .value_kind:     by_value
      - .address_space:  global
        .offset:         88
        .size:           8
        .value_kind:     global_buffer
      - .address_space:  global
        .offset:         96
        .size:           8
        .value_kind:     global_buffer
    .group_segment_fixed_size: 7644
    .kernarg_segment_align: 8
    .kernarg_segment_size: 104
    .language:       OpenCL C
    .language_version:
      - 2
      - 0
    .max_flat_workgroup_size: 91
    .name:           bluestein_single_fwd_len1911_dim1_half_op_CI_CI
    .private_segment_fixed_size: 0
    .sgpr_count:     18
    .sgpr_spill_count: 0
    .symbol:         bluestein_single_fwd_len1911_dim1_half_op_CI_CI.kd
    .uniform_work_group_size: 1
    .uses_dynamic_stack: false
    .vgpr_count:     197
    .vgpr_spill_count: 0
    .wavefront_size: 32
    .workgroup_processor_mode: 1
amdhsa.target:   amdgcn-amd-amdhsa--gfx1030
amdhsa.version:
  - 1
  - 2
...

	.end_amdgpu_metadata
